;; amdgpu-corpus repo=ROCm/rocFFT kind=compiled arch=gfx1201 opt=O3
	.text
	.amdgcn_target "amdgcn-amd-amdhsa--gfx1201"
	.amdhsa_code_object_version 6
	.protected	bluestein_single_fwd_len3000_dim1_dp_op_CI_CI ; -- Begin function bluestein_single_fwd_len3000_dim1_dp_op_CI_CI
	.globl	bluestein_single_fwd_len3000_dim1_dp_op_CI_CI
	.p2align	8
	.type	bluestein_single_fwd_len3000_dim1_dp_op_CI_CI,@function
bluestein_single_fwd_len3000_dim1_dp_op_CI_CI: ; @bluestein_single_fwd_len3000_dim1_dp_op_CI_CI
; %bb.0:
	s_load_b128 s[16:19], s[0:1], 0x28
	v_mul_u32_u24_e32 v1, 0x290, v0
	s_mov_b32 s2, exec_lo
	v_mov_b32_e32 v3, 0
	s_delay_alu instid0(VALU_DEP_2) | instskip(NEXT) | instid1(VALU_DEP_1)
	v_lshrrev_b32_e32 v1, 16, v1
	v_add_nc_u32_e32 v2, ttmp9, v1
	s_wait_kmcnt 0x0
	s_delay_alu instid0(VALU_DEP_1)
	v_cmpx_gt_u64_e64 s[16:17], v[2:3]
	s_cbranch_execz .LBB0_2
; %bb.1:
	s_clause 0x1
	s_load_b128 s[4:7], s[0:1], 0x18
	s_load_b128 s[8:11], s[0:1], 0x0
	v_mul_lo_u16 v1, 0x64, v1
	s_mov_b32 s16, 0x134454ff
	s_mov_b32 s17, 0x3fee6f0e
	;; [unrolled: 1-line block ×4, first 2 shown]
	v_sub_nc_u16 v210, v0, v1
	s_mov_b32 s25, 0xbfd3c6ef
	s_mov_b32 s23, 0xbfe9e377
	v_mov_b32_e32 v4, v2
	s_mov_b32 s22, s20
	v_and_b32_e32 v255, 0xffff, v210
	s_mov_b32 s26, 0xe8584caa
	s_mov_b32 s27, 0x3febb67a
	scratch_store_b64 off, v[4:5], off      ; 8-byte Folded Spill
	s_mov_b32 s29, 0xbfebb67a
	s_mov_b32 s28, s26
	s_load_b64 s[0:1], s[0:1], 0x38
	v_lshlrev_b32_e32 v150, 4, v255
	s_wait_kmcnt 0x0
	s_load_b128 s[12:15], s[4:5], 0x0
	global_load_b128 v[46:49], v150, s[8:9]
	s_wait_kmcnt 0x0
	v_mad_co_u64_u32 v[0:1], null, s14, v2, 0
	v_mad_co_u64_u32 v[2:3], null, s12, v255, 0
	s_mul_u64 s[2:3], s[12:13], 0x12c0
	s_mul_i32 s4, s13, 0xffff5d80
	s_delay_alu instid0(SALU_CYCLE_1) | instskip(NEXT) | instid1(VALU_DEP_1)
	s_sub_co_i32 s4, s4, s12
	v_mad_co_u64_u32 v[4:5], null, s15, v4, v[1:2]
	s_mov_b32 s14, 0x372fe950
	s_mov_b32 s15, 0x3fd3c6ef
	s_wait_alu 0xfffe
	s_mov_b32 s24, s14
	s_delay_alu instid0(VALU_DEP_1) | instskip(SKIP_2) | instid1(VALU_DEP_1)
	v_mad_co_u64_u32 v[5:6], null, s13, v255, v[3:4]
	v_mov_b32_e32 v1, v4
	s_mov_b32 s13, 0xbfe2cf23
	v_lshlrev_b64_e32 v[0:1], 4, v[0:1]
	s_delay_alu instid0(VALU_DEP_3) | instskip(NEXT) | instid1(VALU_DEP_2)
	v_mov_b32_e32 v3, v5
	v_add_co_u32 v0, vcc_lo, s18, v0
	s_delay_alu instid0(VALU_DEP_2) | instskip(NEXT) | instid1(VALU_DEP_4)
	v_lshlrev_b64_e32 v[2:3], 4, v[2:3]
	v_add_co_ci_u32_e32 v1, vcc_lo, s19, v1, vcc_lo
	s_mov_b32 s19, 0xbfee6f0e
	s_mov_b32 s18, s16
	s_delay_alu instid0(VALU_DEP_2) | instskip(SKIP_2) | instid1(VALU_DEP_2)
	v_add_co_u32 v0, vcc_lo, v0, v2
	s_wait_alu 0xfffd
	v_add_co_ci_u32_e32 v1, vcc_lo, v1, v3, vcc_lo
	v_add_co_u32 v2, vcc_lo, v0, s2
	s_wait_alu 0xfffd
	s_delay_alu instid0(VALU_DEP_2)
	v_add_co_ci_u32_e32 v3, vcc_lo, s3, v1, vcc_lo
	global_load_b128 v[28:31], v[0:1], off
	v_add_co_u32 v0, vcc_lo, v2, s2
	s_wait_alu 0xfffd
	v_add_co_ci_u32_e32 v1, vcc_lo, s3, v3, vcc_lo
	global_load_b128 v[84:87], v150, s[8:9] offset:4800
	global_load_b128 v[12:15], v[2:3], off
	global_load_b128 v[80:83], v150, s[8:9] offset:9600
	global_load_b128 v[4:7], v[0:1], off
	v_add_co_u32 v0, vcc_lo, v0, s2
	s_wait_alu 0xfffd
	v_add_co_ci_u32_e32 v1, vcc_lo, s3, v1, vcc_lo
	global_load_b128 v[72:75], v150, s[8:9] offset:14400
	global_load_b128 v[8:11], v[0:1], off
	v_add_co_u32 v16, vcc_lo, v0, s2
	s_wait_alu 0xfffd
	v_add_co_ci_u32_e32 v17, vcc_lo, s3, v1, vcc_lo
	;; [unrolled: 5-line block ×7, first 2 shown]
	global_load_b128 v[92:95], v150, s[8:9] offset:43200
	global_load_b128 v[36:39], v[40:41], off
	v_mad_co_u64_u32 v[44:45], null, 0xffff5d80, s12, v[40:41]
	global_load_b128 v[96:99], v150, s[8:9] offset:1600
	v_add_nc_u32_e32 v45, s4, v45
	v_add_co_u32 v58, vcc_lo, v44, s2
	s_wait_loadcnt 0x14
	v_mov_b32_e32 v40, v46
	v_dual_mov_b32 v42, v48 :: v_dual_mov_b32 v43, v49
	v_mov_b32_e32 v41, v47
	s_wait_alu 0xfffd
	v_add_co_ci_u32_e32 v59, vcc_lo, s3, v45, vcc_lo
	s_wait_loadcnt 0x12
	scratch_store_b128 off, v[84:87], off offset:472 ; 16-byte Folded Spill
	s_wait_loadcnt 0x11
	v_mul_f64_e32 v[50:51], v[14:15], v[86:87]
	s_wait_loadcnt 0x10
	v_dual_mov_b32 v103, v83 :: v_dual_mov_b32 v102, v82
	v_dual_mov_b32 v100, v80 :: v_dual_mov_b32 v107, v43
	v_mov_b32_e32 v106, v42
	v_mul_f64_e32 v[46:47], v[30:31], v[42:43]
	v_mul_f64_e32 v[48:49], v[28:29], v[42:43]
	v_dual_mov_b32 v105, v41 :: v_dual_mov_b32 v104, v40
	global_load_b128 v[40:43], v[44:45], off
	s_wait_loadcnt 0x10
	v_mul_f64_e32 v[54:55], v[6:7], v[82:83]
	v_mul_f64_e32 v[56:57], v[4:5], v[82:83]
	v_mov_b32_e32 v101, v81
	global_load_b128 v[80:83], v150, s[8:9] offset:6400
	v_mul_f64_e32 v[52:53], v[12:13], v[86:87]
	s_wait_loadcnt 0xe
	s_clause 0x3
	scratch_store_b128 off, v[64:67], off offset:424
	scratch_store_b128 off, v[104:107], off offset:392
	;; [unrolled: 1-line block ×4, first 2 shown]
	s_wait_loadcnt 0xc
	scratch_store_b128 off, v[60:63], off offset:408 ; 16-byte Folded Spill
	s_wait_loadcnt 0x8
	scratch_store_b128 off, v[68:71], off offset:360 ; 16-byte Folded Spill
	v_fma_f64 v[12:13], v[12:13], v[84:85], v[50:51]
	v_mul_f64_e32 v[50:51], v[8:9], v[74:75]
	v_fma_f64 v[28:29], v[28:29], v[104:105], v[46:47]
	global_load_b128 v[44:47], v[58:59], off
	v_fma_f64 v[30:31], v[30:31], v[104:105], -v[48:49]
	v_mul_f64_e32 v[48:49], v[10:11], v[74:75]
	v_fma_f64 v[4:5], v[4:5], v[100:101], v[54:55]
	v_fma_f64 v[6:7], v[6:7], v[100:101], -v[56:57]
	v_fma_f64 v[14:15], v[14:15], v[84:85], -v[52:53]
	v_add_co_u32 v52, vcc_lo, v58, s2
	s_wait_alu 0xfffd
	v_add_co_ci_u32_e32 v53, vcc_lo, s3, v59, vcc_lo
	s_wait_loadcnt 0x3
	scratch_store_b128 off, v[96:99], off offset:200 ; 16-byte Folded Spill
	v_fma_f64 v[10:11], v[10:11], v[72:73], -v[50:51]
	v_mul_f64_e32 v[50:51], v[0:1], v[66:67]
	v_fma_f64 v[8:9], v[8:9], v[72:73], v[48:49]
	v_mul_f64_e32 v[48:49], v[2:3], v[66:67]
	s_delay_alu instid0(VALU_DEP_3) | instskip(SKIP_1) | instid1(VALU_DEP_3)
	v_fma_f64 v[2:3], v[2:3], v[64:65], -v[50:51]
	v_mul_f64_e32 v[50:51], v[16:17], v[62:63]
	v_fma_f64 v[0:1], v[0:1], v[64:65], v[48:49]
	v_mul_f64_e32 v[48:49], v[18:19], v[62:63]
	global_load_b128 v[62:65], v150, s[8:9] offset:16000
	scratch_store_b128 off, v[88:91], off offset:296 ; 16-byte Folded Spill
	v_fma_f64 v[18:19], v[18:19], v[60:61], -v[50:51]
	v_mul_f64_e32 v[50:51], v[20:21], v[78:79]
	v_fma_f64 v[16:17], v[16:17], v[60:61], v[48:49]
	v_mul_f64_e32 v[48:49], v[22:23], v[78:79]
	global_load_b128 v[58:61], v150, s[8:9] offset:11200
	scratch_store_b128 off, v[92:95], off offset:248 ; 16-byte Folded Spill
	v_fma_f64 v[22:23], v[22:23], v[76:77], -v[50:51]
	v_mul_f64_e32 v[50:51], v[24:25], v[70:71]
	v_fma_f64 v[20:21], v[20:21], v[76:77], v[48:49]
	v_mul_f64_e32 v[48:49], v[26:27], v[70:71]
	s_delay_alu instid0(VALU_DEP_3) | instskip(SKIP_1) | instid1(VALU_DEP_3)
	v_fma_f64 v[26:27], v[26:27], v[68:69], -v[50:51]
	v_mul_f64_e32 v[50:51], v[32:33], v[90:91]
	v_fma_f64 v[24:25], v[24:25], v[68:69], v[48:49]
	v_mul_f64_e32 v[48:49], v[34:35], v[90:91]
	global_load_b128 v[66:69], v150, s[8:9] offset:20800
	scratch_store_b128 off, v[76:79], off offset:376 ; 16-byte Folded Spill
	v_fma_f64 v[34:35], v[34:35], v[88:89], -v[50:51]
	v_mul_f64_e32 v[50:51], v[36:37], v[94:95]
	v_fma_f64 v[32:33], v[32:33], v[88:89], v[48:49]
	v_mul_f64_e32 v[48:49], v[38:39], v[94:95]
	s_delay_alu instid0(VALU_DEP_3) | instskip(NEXT) | instid1(VALU_DEP_2)
	v_fma_f64 v[38:39], v[38:39], v[92:93], -v[50:51]
	v_fma_f64 v[36:37], v[36:37], v[92:93], v[48:49]
	s_wait_loadcnt 0x5
	v_mul_f64_e32 v[48:49], v[42:43], v[98:99]
	v_mul_f64_e32 v[50:51], v[40:41], v[98:99]
	s_wait_loadcnt 0x4
	scratch_store_b128 off, v[80:83], off offset:184 ; 16-byte Folded Spill
	v_fma_f64 v[40:41], v[40:41], v[96:97], v[48:49]
	v_fma_f64 v[42:43], v[42:43], v[96:97], -v[50:51]
	s_wait_loadcnt 0x3
	v_mul_f64_e32 v[48:49], v[46:47], v[82:83]
	v_mul_f64_e32 v[50:51], v[44:45], v[82:83]
	s_delay_alu instid0(VALU_DEP_2) | instskip(NEXT) | instid1(VALU_DEP_2)
	v_fma_f64 v[44:45], v[44:45], v[80:81], v[48:49]
	v_fma_f64 v[46:47], v[46:47], v[80:81], -v[50:51]
	global_load_b128 v[48:51], v[52:53], off
	s_wait_loadcnt 0x3
	scratch_store_b128 off, v[62:65], off offset:312 ; 16-byte Folded Spill
	s_wait_loadcnt 0x2
	scratch_store_b128 off, v[58:61], off offset:232 ; 16-byte Folded Spill
	;; [unrolled: 2-line block ×3, first 2 shown]
	s_wait_loadcnt 0x0
	v_mul_f64_e32 v[56:57], v[48:49], v[60:61]
	v_mul_f64_e32 v[54:55], v[50:51], v[60:61]
	s_delay_alu instid0(VALU_DEP_2) | instskip(SKIP_3) | instid1(VALU_DEP_4)
	v_fma_f64 v[50:51], v[50:51], v[58:59], -v[56:57]
	v_add_co_u32 v56, vcc_lo, v52, s2
	s_wait_alu 0xfffd
	v_add_co_ci_u32_e32 v57, vcc_lo, s3, v53, vcc_lo
	v_fma_f64 v[48:49], v[48:49], v[58:59], v[54:55]
	global_load_b128 v[52:55], v[56:57], off
	s_wait_loadcnt 0x0
	v_mul_f64_e32 v[60:61], v[52:53], v[64:65]
	v_mul_f64_e32 v[58:59], v[54:55], v[64:65]
	s_delay_alu instid0(VALU_DEP_2) | instskip(SKIP_3) | instid1(VALU_DEP_4)
	v_fma_f64 v[54:55], v[54:55], v[62:63], -v[60:61]
	v_add_co_u32 v60, vcc_lo, v56, s2
	s_wait_alu 0xfffd
	v_add_co_ci_u32_e32 v61, vcc_lo, s3, v57, vcc_lo
	v_fma_f64 v[52:53], v[52:53], v[62:63], v[58:59]
	global_load_b128 v[56:59], v[60:61], off
	s_wait_loadcnt 0x0
	v_mul_f64_e32 v[64:65], v[56:57], v[68:69]
	v_mul_f64_e32 v[62:63], v[58:59], v[68:69]
	s_delay_alu instid0(VALU_DEP_2) | instskip(SKIP_3) | instid1(VALU_DEP_4)
	v_fma_f64 v[58:59], v[58:59], v[66:67], -v[64:65]
	v_add_co_u32 v64, vcc_lo, v60, s2
	s_wait_alu 0xfffd
	v_add_co_ci_u32_e32 v65, vcc_lo, s3, v61, vcc_lo
	v_fma_f64 v[56:57], v[56:57], v[66:67], v[62:63]
	global_load_b128 v[70:73], v150, s[8:9] offset:25600
	global_load_b128 v[60:63], v[64:65], off
	s_clause 0xc
	global_load_b128 v[74:77], v150, s[8:9] offset:30400
	global_load_b128 v[114:117], v150, s[8:9] offset:32000
	;; [unrolled: 1-line block ×13, first 2 shown]
	s_wait_loadcnt 0xe
	scratch_store_b128 off, v[70:73], off offset:344 ; 16-byte Folded Spill
	s_wait_loadcnt 0xd
	v_mul_f64_e32 v[68:69], v[60:61], v[72:73]
	v_mul_f64_e32 v[66:67], v[62:63], v[72:73]
	s_wait_loadcnt 0xc
	scratch_store_b128 off, v[74:77], off offset:264 ; 16-byte Folded Spill
	s_wait_loadcnt 0xa
	s_clause 0x1
	scratch_store_b128 off, v[78:81], off offset:280
	scratch_store_b128 off, v[114:117], off offset:8
	s_wait_loadcnt 0x9
	scratch_store_b128 off, v[118:121], off offset:24 ; 16-byte Folded Spill
	s_wait_loadcnt 0x7
	s_clause 0x1
	scratch_store_b128 off, v[82:85], off offset:168
	scratch_store_b128 off, v[86:89], off offset:216
	s_wait_loadcnt 0x5
	scratch_store_b128 off, v[98:101], off offset:152 ; 16-byte Folded Spill
	s_wait_loadcnt 0x4
	scratch_store_b128 off, v[102:105], off offset:104 ; 16-byte Folded Spill
	;; [unrolled: 2-line block ×4, first 2 shown]
	s_wait_loadcnt 0x1
	s_clause 0x1
	scratch_store_b128 off, v[106:109], off offset:56
	scratch_store_b128 off, v[122:125], off offset:40
	s_wait_loadcnt 0x0
	scratch_store_b128 off, v[110:113], off offset:72 ; 16-byte Folded Spill
	v_fma_f64 v[62:63], v[62:63], v[70:71], -v[68:69]
	v_add_co_u32 v68, vcc_lo, v64, s2
	s_wait_alu 0xfffd
	v_add_co_ci_u32_e32 v69, vcc_lo, s3, v65, vcc_lo
	v_fma_f64 v[60:61], v[60:61], v[70:71], v[66:67]
	global_load_b128 v[64:67], v[68:69], off
	s_wait_loadcnt 0x0
	v_mul_f64_e32 v[72:73], v[64:65], v[76:77]
	v_mul_f64_e32 v[70:71], v[66:67], v[76:77]
	s_delay_alu instid0(VALU_DEP_2) | instskip(SKIP_3) | instid1(VALU_DEP_4)
	v_fma_f64 v[66:67], v[66:67], v[74:75], -v[72:73]
	v_add_co_u32 v72, vcc_lo, v68, s2
	s_wait_alu 0xfffd
	v_add_co_ci_u32_e32 v73, vcc_lo, s3, v69, vcc_lo
	v_fma_f64 v[64:65], v[64:65], v[74:75], v[70:71]
	global_load_b128 v[68:71], v[72:73], off
	s_wait_loadcnt 0x0
	v_mul_f64_e32 v[76:77], v[68:69], v[80:81]
	v_mul_f64_e32 v[74:75], v[70:71], v[80:81]
	s_delay_alu instid0(VALU_DEP_2) | instskip(SKIP_3) | instid1(VALU_DEP_4)
	;; [unrolled: 10-line block ×3, first 2 shown]
	v_fma_f64 v[74:75], v[74:75], v[82:83], -v[80:81]
	v_add_co_u32 v80, vcc_lo, v76, s2
	s_wait_alu 0xfffd
	v_add_co_ci_u32_e32 v81, vcc_lo, s3, v77, vcc_lo
	v_fma_f64 v[72:73], v[72:73], v[82:83], v[78:79]
	global_load_b128 v[76:79], v[80:81], off
	s_wait_loadcnt 0x0
	v_mul_f64_e32 v[84:85], v[76:77], v[88:89]
	v_mul_f64_e32 v[82:83], v[78:79], v[88:89]
	s_delay_alu instid0(VALU_DEP_2) | instskip(SKIP_1) | instid1(VALU_DEP_3)
	v_fma_f64 v[78:79], v[78:79], v[86:87], -v[84:85]
	v_mad_co_u64_u32 v[84:85], null, 0xffff5d80, s12, v[80:81]
	v_fma_f64 v[76:77], v[76:77], v[86:87], v[82:83]
	s_delay_alu instid0(VALU_DEP_2) | instskip(SKIP_4) | instid1(VALU_DEP_2)
	v_add_nc_u32_e32 v85, s4, v85
	global_load_b128 v[80:83], v[84:85], off
	s_wait_loadcnt 0x0
	v_mul_f64_e32 v[88:89], v[80:81], v[92:93]
	v_mul_f64_e32 v[86:87], v[82:83], v[92:93]
	v_fma_f64 v[82:83], v[82:83], v[90:91], -v[88:89]
	v_add_co_u32 v88, vcc_lo, v84, s2
	s_wait_alu 0xfffd
	v_add_co_ci_u32_e32 v89, vcc_lo, s3, v85, vcc_lo
	s_delay_alu instid0(VALU_DEP_4) | instskip(SKIP_4) | instid1(VALU_DEP_2)
	v_fma_f64 v[80:81], v[80:81], v[90:91], v[86:87]
	global_load_b128 v[84:87], v[88:89], off
	s_wait_loadcnt 0x0
	v_mul_f64_e32 v[92:93], v[84:85], v[96:97]
	v_mul_f64_e32 v[90:91], v[86:87], v[96:97]
	v_fma_f64 v[86:87], v[86:87], v[94:95], -v[92:93]
	v_add_co_u32 v92, vcc_lo, v88, s2
	s_wait_alu 0xfffd
	v_add_co_ci_u32_e32 v93, vcc_lo, s3, v89, vcc_lo
	s_delay_alu instid0(VALU_DEP_4) | instskip(SKIP_4) | instid1(VALU_DEP_2)
	v_fma_f64 v[84:85], v[84:85], v[94:95], v[90:91]
	;; [unrolled: 10-line block ×7, first 2 shown]
	global_load_b128 v[108:111], v[112:113], off
	s_wait_loadcnt 0x0
	v_mul_f64_e32 v[116:117], v[108:109], v[120:121]
	v_mul_f64_e32 v[114:115], v[110:111], v[120:121]
	v_fma_f64 v[110:111], v[110:111], v[118:119], -v[116:117]
	v_add_co_u32 v116, vcc_lo, v112, s2
	s_wait_alu 0xfffd
	v_add_co_ci_u32_e32 v117, vcc_lo, s3, v113, vcc_lo
	s_delay_alu instid0(VALU_DEP_4)
	v_fma_f64 v[108:109], v[108:109], v[118:119], v[114:115]
	global_load_b128 v[112:115], v[116:117], off
	v_add_co_u32 v116, vcc_lo, v116, s2
	s_wait_alu 0xfffd
	v_add_co_ci_u32_e32 v117, vcc_lo, s3, v117, vcc_lo
	s_mov_b32 s2, 0x4755a5e
	s_mov_b32 s3, 0x3fe2cf23
	s_wait_alu 0xfffe
	s_mov_b32 s12, s2
	s_wait_loadcnt 0x0
	v_mul_f64_e32 v[118:119], v[114:115], v[124:125]
	v_mul_f64_e32 v[120:121], v[112:113], v[124:125]
	s_delay_alu instid0(VALU_DEP_2)
	v_fma_f64 v[112:113], v[112:113], v[122:123], v[118:119]
	global_load_b128 v[116:119], v[116:117], off
	global_load_b128 v[124:127], v150, s[8:9] offset:46400
	v_fma_f64 v[114:115], v[114:115], v[122:123], -v[120:121]
	s_wait_loadcnt 0x0
	v_mul_f64_e32 v[120:121], v[118:119], v[126:127]
	v_mul_f64_e32 v[122:123], v[116:117], v[126:127]
	scratch_store_b128 off, v[124:127], off offset:88 ; 16-byte Folded Spill
	v_fma_f64 v[116:117], v[116:117], v[124:125], v[120:121]
	v_fma_f64 v[118:119], v[118:119], v[124:125], -v[122:123]
	ds_store_b128 v150, v[28:31]
	ds_store_b128 v150, v[12:15] offset:4800
	ds_store_b128 v150, v[4:7] offset:9600
	;; [unrolled: 1-line block ×29, first 2 shown]
	s_load_b128 s[4:7], s[6:7], 0x0
	global_wb scope:SCOPE_SE
	s_wait_storecnt_dscnt 0x0
	s_wait_kmcnt 0x0
	s_barrier_signal -1
	s_barrier_wait -1
	global_inv scope:SCOPE_SE
	ds_load_b128 v[0:3], v150
	ds_load_b128 v[4:7], v150 offset:9600
	ds_load_b128 v[12:15], v150 offset:38400
	;; [unrolled: 1-line block ×3, first 2 shown]
	s_wait_dscnt 0x2
	v_add_f64_e32 v[20:21], v[0:1], v[4:5]
	v_add_f64_e32 v[26:27], v[2:3], v[6:7]
	s_wait_dscnt 0x1
	v_add_f64_e32 v[178:179], v[4:5], v[12:13]
	v_add_f64_e32 v[180:181], v[6:7], v[14:15]
	v_add_f64_e64 v[16:17], v[6:7], -v[14:15]
	s_wait_dscnt 0x0
	v_add_f64_e64 v[192:193], v[4:5], -v[22:23]
	v_add_f64_e64 v[28:29], v[22:23], -v[4:5]
	;; [unrolled: 1-line block ×5, first 2 shown]
	ds_load_b128 v[4:7], v150 offset:28800
	s_wait_dscnt 0x0
	v_add_f64_e32 v[184:185], v[22:23], v[4:5]
	v_add_f64_e32 v[182:183], v[24:25], v[6:7]
	v_add_f64_e64 v[196:197], v[12:13], -v[4:5]
	v_add_f64_e64 v[36:37], v[4:5], -v[12:13]
	;; [unrolled: 1-line block ×4, first 2 shown]
	v_add_f64_e32 v[32:33], v[20:21], v[22:23]
	v_add_f64_e32 v[26:27], v[26:27], v[24:25]
	v_add_f64_e64 v[20:21], v[24:25], -v[6:7]
	v_add_f64_e64 v[22:23], v[22:23], -v[4:5]
	v_fma_f64 v[190:191], v[178:179], -0.5, v[0:1]
	v_fma_f64 v[178:179], v[182:183], -0.5, v[2:3]
	v_add_f64_e32 v[192:193], v[192:193], v[196:197]
	v_add_f64_e32 v[194:195], v[194:195], v[198:199]
	;; [unrolled: 1-line block ×4, first 2 shown]
	ds_load_b128 v[4:7], v150 offset:4800
	ds_load_b128 v[32:35], v150 offset:14400
	ds_load_b128 v[50:53], v150 offset:43200
	ds_load_b128 v[44:47], v150 offset:24000
	s_wait_dscnt 0x2
	v_add_f64_e32 v[48:49], v[4:5], v[32:33]
	v_add_f64_e32 v[54:55], v[6:7], v[34:35]
	s_wait_dscnt 0x1
	v_add_f64_e32 v[186:187], v[32:33], v[50:51]
	s_wait_dscnt 0x0
	v_add_f64_e64 v[200:201], v[32:33], -v[44:45]
	v_add_f64_e64 v[40:41], v[44:45], -v[32:33]
	v_add_f64_e32 v[219:220], v[34:35], v[52:53]
	v_add_f64_e64 v[202:203], v[34:35], -v[46:47]
	v_add_f64_e64 v[42:43], v[46:47], -v[34:35]
	v_add_f64_e32 v[12:13], v[24:25], v[12:13]
	v_add_f64_e32 v[14:15], v[26:27], v[14:15]
	v_add_f64_e64 v[26:27], v[32:33], -v[50:51]
	v_add_f64_e64 v[24:25], v[34:35], -v[52:53]
	v_add_f64_e32 v[48:49], v[48:49], v[44:45]
	v_add_f64_e32 v[58:59], v[54:55], v[46:47]
	ds_load_b128 v[54:57], v150 offset:33600
	ds_load_b128 v[62:65], v150 offset:11200
	;; [unrolled: 1-line block ×4, first 2 shown]
	v_fma_f64 v[186:187], v[186:187], -0.5, v[4:5]
	ds_load_b128 v[78:81], v150 offset:40000
	s_wait_dscnt 0x4
	v_add_f64_e32 v[225:226], v[44:45], v[54:55]
	v_add_f64_e64 v[32:33], v[44:45], -v[54:55]
	v_add_f64_e32 v[221:222], v[46:47], v[56:57]
	v_add_f64_e64 v[34:35], v[46:47], -v[56:57]
	v_add_f64_e64 v[204:205], v[50:51], -v[54:55]
	;; [unrolled: 1-line block ×4, first 2 shown]
	s_wait_dscnt 0x0
	v_add_f64_e32 v[229:230], v[62:63], v[78:79]
	v_add_f64_e32 v[231:232], v[64:65], v[80:81]
	v_add_f64_e64 v[72:73], v[78:79], -v[74:75]
	v_add_f64_e32 v[44:45], v[48:49], v[54:55]
	v_add_f64_e32 v[58:59], v[58:59], v[56:57]
	v_add_f64_e64 v[48:49], v[56:57], -v[52:53]
	v_add_f64_e64 v[54:55], v[62:63], -v[78:79]
	v_fma_f64 v[182:183], v[225:226], -0.5, v[4:5]
	v_add_f64_e32 v[198:199], v[200:201], v[204:205]
	v_add_f64_e32 v[40:41], v[40:41], v[46:47]
	;; [unrolled: 1-line block ×6, first 2 shown]
	ds_load_b128 v[50:53], v150 offset:20800
	ds_load_b128 v[151:154], v150 offset:6400
	;; [unrolled: 1-line block ×5, first 2 shown]
	v_add_f64_e32 v[42:43], v[42:43], v[48:49]
	s_wait_dscnt 0x4
	v_add_f64_e64 v[60:61], v[62:63], -v[50:51]
	v_add_f64_e64 v[56:57], v[50:51], -v[62:63]
	v_add_f64_e32 v[208:209], v[50:51], v[74:75]
	v_add_f64_e32 v[223:224], v[52:53], v[76:77]
	v_add_f64_e64 v[68:69], v[64:65], -v[52:53]
	v_add_f64_e64 v[58:59], v[52:53], -v[64:65]
	s_wait_dscnt 0x0
	v_add_f64_e32 v[241:242], v[88:89], v[104:105]
	v_add_f64_e32 v[243:244], v[90:91], v[106:107]
	v_add_f64_e64 v[100:101], v[104:105], -v[96:97]
	v_add_f64_e64 v[102:103], v[106:107], -v[98:99]
	;; [unrolled: 1-line block ×3, first 2 shown]
	v_add_f64_e32 v[66:67], v[44:45], v[50:51]
	v_add_f64_e32 v[44:45], v[144:145], v[64:65]
	v_add_f64_e64 v[50:51], v[50:51], -v[74:75]
	v_add_f64_e64 v[227:228], v[14:15], -v[174:175]
	s_delay_alu instid0(VALU_DEP_4) | instskip(NEXT) | instid1(VALU_DEP_4)
	v_add_f64_e32 v[62:63], v[66:67], v[74:75]
	v_add_f64_e32 v[70:71], v[44:45], v[52:53]
	v_add_f64_e64 v[44:45], v[52:53], -v[76:77]
	v_add_f64_e64 v[52:53], v[64:65], -v[80:81]
	;; [unrolled: 1-line block ×5, first 2 shown]
	v_add_f64_e32 v[233:234], v[62:63], v[78:79]
	v_add_f64_e32 v[62:63], v[151:152], v[88:89]
	v_add_f64_e32 v[70:71], v[70:71], v[76:77]
	ds_load_b128 v[76:79], v150 offset:25600
	ds_load_b128 v[211:214], v150 offset:3200
	;; [unrolled: 1-line block ×5, first 2 shown]
	s_wait_dscnt 0x4
	v_add_f64_e32 v[237:238], v[76:77], v[96:97]
	v_add_f64_e64 v[86:87], v[88:89], -v[76:77]
	v_add_f64_e32 v[239:240], v[78:79], v[98:99]
	v_add_f64_e64 v[94:95], v[90:91], -v[78:79]
	v_add_f64_e64 v[84:85], v[78:79], -v[90:91]
	s_wait_dscnt 0x0
	v_add_f64_e32 v[253:254], v[110:111], v[126:127]
	v_add_f64_e32 v[8:9], v[112:113], v[128:129]
	v_add_f64_e64 v[120:121], v[126:127], -v[122:123]
	v_add_f64_e32 v[82:83], v[62:63], v[76:77]
	v_add_f64_e32 v[62:63], v[153:154], v[90:91]
	v_add_f64_e32 v[235:236], v[70:71], v[80:81]
	v_add_f64_e64 v[80:81], v[76:77], -v[88:89]
	v_add_f64_e64 v[70:71], v[76:77], -v[96:97]
	v_add_f64_e64 v[76:77], v[88:89], -v[104:105]
	v_add_f64_e32 v[82:83], v[82:83], v[96:97]
	v_add_f64_e32 v[92:93], v[62:63], v[78:79]
	v_add_f64_e64 v[62:63], v[78:79], -v[98:99]
	v_add_f64_e64 v[78:79], v[90:91], -v[106:107]
	v_add_f64_e64 v[90:91], v[96:97], -v[104:105]
	v_add_f64_e32 v[245:246], v[82:83], v[104:105]
	v_add_f64_e32 v[82:83], v[211:212], v[110:111]
	;; [unrolled: 1-line block ×3, first 2 shown]
	v_add_f64_e64 v[92:93], v[98:99], -v[106:107]
	ds_load_b128 v[96:99], v150 offset:22400
	ds_load_b128 v[215:218], v150 offset:8000
	;; [unrolled: 1-line block ×5, first 2 shown]
	v_add_f64_e32 v[80:81], v[80:81], v[90:91]
	s_wait_dscnt 0x4
	v_add_f64_e64 v[108:109], v[110:111], -v[96:97]
	v_add_f64_e64 v[104:105], v[96:97], -v[110:111]
	v_add_f64_e32 v[251:252], v[98:99], v[124:125]
	v_add_f64_e64 v[116:117], v[112:113], -v[98:99]
	v_add_f64_e32 v[249:250], v[96:97], v[122:123]
	s_wait_dscnt 0x0
	v_add_f64_e32 v[148:149], v[138:139], v[162:163]
	v_add_f64_e32 v[170:171], v[140:141], v[164:165]
	v_add_f64_e64 v[4:5], v[233:234], -v[245:246]
	v_add_f64_e32 v[114:115], v[82:83], v[96:97]
	v_add_f64_e32 v[82:83], v[213:214], v[112:113]
	v_add_f64_e32 v[247:248], v[88:89], v[106:107]
	v_add_f64_e64 v[106:107], v[98:99], -v[112:113]
	v_add_f64_e64 v[88:89], v[96:97], -v[122:123]
	;; [unrolled: 1-line block ×4, first 2 shown]
	v_add_f64_e32 v[84:85], v[84:85], v[92:93]
	v_add_f64_e32 v[118:119], v[82:83], v[98:99]
	v_add_f64_e64 v[82:83], v[98:99], -v[124:125]
	v_add_f64_e64 v[98:99], v[110:111], -v[126:127]
	v_add_f64_e32 v[110:111], v[114:115], v[122:123]
	v_add_f64_e64 v[122:123], v[128:129], -v[124:125]
	v_add_f64_e64 v[114:115], v[124:125], -v[128:129]
	v_add_f64_e32 v[118:119], v[118:119], v[124:125]
	s_delay_alu instid0(VALU_DEP_4)
	v_add_f64_e32 v[10:11], v[110:111], v[126:127]
	v_add_f64_e32 v[110:111], v[215:216], v[138:139]
	ds_load_b128 v[124:127], v150 offset:27200
	global_wb scope:SCOPE_SE
	s_wait_dscnt 0x0
	s_barrier_signal -1
	s_barrier_wait -1
	global_inv scope:SCOPE_SE
	v_add_f64_e32 v[136:137], v[124:125], v[158:159]
	v_add_f64_e64 v[132:133], v[138:139], -v[124:125]
	v_add_f64_e32 v[166:167], v[126:127], v[160:161]
	v_add_f64_e64 v[146:147], v[140:141], -v[126:127]
	v_add_f64_e64 v[130:131], v[126:127], -v[140:141]
	v_add_f64_e32 v[134:135], v[118:119], v[128:129]
	v_add_f64_e64 v[128:129], v[124:125], -v[138:139]
	v_add_f64_e64 v[118:119], v[124:125], -v[158:159]
	v_add_f64_e32 v[155:156], v[110:111], v[124:125]
	v_add_f64_e32 v[110:111], v[217:218], v[140:141]
	v_add_f64_e64 v[124:125], v[138:139], -v[162:163]
	v_add_f64_e64 v[138:139], v[158:159], -v[162:163]
	s_delay_alu instid0(VALU_DEP_4) | instskip(NEXT) | instid1(VALU_DEP_4)
	v_add_f64_e32 v[188:189], v[155:156], v[158:159]
	v_add_f64_e32 v[176:177], v[110:111], v[126:127]
	v_add_f64_e64 v[110:111], v[126:127], -v[160:161]
	v_add_f64_e64 v[126:127], v[140:141], -v[164:165]
	;; [unrolled: 1-line block ×5, first 2 shown]
	v_add_f64_e32 v[168:169], v[188:189], v[162:163]
	v_add_f64_e32 v[176:177], v[176:177], v[160:161]
	v_fma_f64 v[188:189], v[180:181], -0.5, v[2:3]
	v_fma_f64 v[180:181], v[221:222], -0.5, v[6:7]
	v_add_f64_e32 v[221:222], v[14:15], v[174:175]
	v_fma_f64 v[174:175], v[229:230], -0.5, v[142:143]
	v_fma_f64 v[229:230], v[251:252], -0.5, v[213:214]
	;; [unrolled: 1-line block ×8, first 2 shown]
	v_add_f64_e32 v[164:165], v[176:177], v[164:165]
	v_fma_f64 v[176:177], v[184:185], -0.5, v[0:1]
	v_fma_f64 v[184:185], v[219:220], -0.5, v[6:7]
	v_add_f64_e32 v[219:220], v[12:13], v[172:173]
	v_fma_f64 v[172:173], v[231:232], -0.5, v[144:145]
	v_fma_f64 v[231:232], v[237:238], -0.5, v[151:152]
	;; [unrolled: 1-line block ×6, first 2 shown]
	v_mul_lo_u16 v8, v210, 10
	v_add_f64_e32 v[213:214], v[235:236], v[247:248]
	v_add_f64_e64 v[6:7], v[235:236], -v[247:248]
	v_add_f64_e32 v[0:1], v[10:11], v[168:169]
	v_add_f64_e64 v[12:13], v[10:11], -v[168:169]
	v_and_b32_e32 v8, 0xffff, v8
	v_fma_f64 v[10:11], v[26:27], s[18:19], v[180:181]
	v_fma_f64 v[144:145], v[136:137], -0.5, v[215:216]
	v_fma_f64 v[154:155], v[253:254], -0.5, v[211:212]
	v_add_f64_e32 v[211:212], v[233:234], v[245:246]
	v_lshlrev_b32_e32 v248, 4, v8
	v_fma_f64 v[8:9], v[24:25], s[16:17], v[182:183]
	ds_store_b128 v248, v[219:222]
	ds_store_b128 v248, v[225:228] offset:80
	v_add_f64_e32 v[2:3], v[134:135], v[164:165]
	v_add_f64_e64 v[14:15], v[134:135], -v[164:165]
	v_fma_f64 v[10:11], v[32:33], s[12:13], v[10:11]
	v_fma_f64 v[8:9], v[34:35], s[2:3], v[8:9]
	s_delay_alu instid0(VALU_DEP_2) | instskip(NEXT) | instid1(VALU_DEP_2)
	v_fma_f64 v[10:11], v[196:197], s[14:15], v[10:11]
	v_fma_f64 v[8:9], v[198:199], s[14:15], v[8:9]
	s_delay_alu instid0(VALU_DEP_1) | instskip(SKIP_1) | instid1(VALU_DEP_2)
	v_mul_f64_e32 v[134:135], s[20:21], v[8:9]
	v_mul_f64_e32 v[8:9], s[12:13], v[8:9]
	v_fma_f64 v[200:201], v[10:11], s[2:3], v[134:135]
	s_delay_alu instid0(VALU_DEP_2) | instskip(SKIP_2) | instid1(VALU_DEP_2)
	v_fma_f64 v[202:203], v[10:11], s[20:21], v[8:9]
	v_fma_f64 v[8:9], v[16:17], s[16:17], v[176:177]
	;; [unrolled: 1-line block ×4, first 2 shown]
	s_delay_alu instid0(VALU_DEP_2) | instskip(NEXT) | instid1(VALU_DEP_2)
	v_fma_f64 v[10:11], v[22:23], s[12:13], v[10:11]
	v_fma_f64 v[8:9], v[192:193], s[14:15], v[8:9]
	s_delay_alu instid0(VALU_DEP_2) | instskip(NEXT) | instid1(VALU_DEP_2)
	v_fma_f64 v[10:11], v[194:195], s[14:15], v[10:11]
	v_add_f64_e32 v[204:205], v[8:9], v[200:201]
	v_add_f64_e64 v[200:201], v[8:9], -v[200:201]
	v_add_f64_e32 v[8:9], v[28:29], v[36:37]
	v_fma_f64 v[28:29], v[32:33], s[16:17], v[184:185]
	v_add_f64_e32 v[206:207], v[10:11], v[202:203]
	v_add_f64_e64 v[202:203], v[10:11], -v[202:203]
	v_add_f64_e32 v[10:11], v[30:31], v[38:39]
	v_fma_f64 v[30:31], v[34:35], s[18:19], v[186:187]
	v_fma_f64 v[28:29], v[26:27], s[12:13], v[28:29]
	s_delay_alu instid0(VALU_DEP_2) | instskip(NEXT) | instid1(VALU_DEP_2)
	v_fma_f64 v[30:31], v[24:25], s[2:3], v[30:31]
	v_fma_f64 v[28:29], v[42:43], s[14:15], v[28:29]
	s_delay_alu instid0(VALU_DEP_2) | instskip(NEXT) | instid1(VALU_DEP_2)
	v_fma_f64 v[30:31], v[40:41], s[14:15], v[30:31]
	v_mul_f64_e32 v[36:37], s[16:17], v[28:29]
	s_delay_alu instid0(VALU_DEP_1) | instskip(SKIP_1) | instid1(VALU_DEP_1)
	v_fma_f64 v[36:37], v[30:31], s[14:15], v[36:37]
	v_mul_f64_e32 v[30:31], s[18:19], v[30:31]
	v_fma_f64 v[38:39], v[28:29], s[14:15], v[30:31]
	v_fma_f64 v[28:29], v[20:21], s[18:19], v[190:191]
	;; [unrolled: 1-line block ×3, first 2 shown]
	s_delay_alu instid0(VALU_DEP_2) | instskip(NEXT) | instid1(VALU_DEP_2)
	v_fma_f64 v[28:29], v[16:17], s[2:3], v[28:29]
	v_fma_f64 v[30:31], v[18:19], s[12:13], v[30:31]
	s_delay_alu instid0(VALU_DEP_2) | instskip(NEXT) | instid1(VALU_DEP_2)
	v_fma_f64 v[46:47], v[8:9], s[14:15], v[28:29]
	v_fma_f64 v[48:49], v[10:11], s[14:15], v[30:31]
	s_delay_alu instid0(VALU_DEP_2) | instskip(SKIP_2) | instid1(VALU_DEP_4)
	v_add_f64_e32 v[28:29], v[46:47], v[36:37]
	v_add_f64_e64 v[36:37], v[46:47], -v[36:37]
	v_fma_f64 v[46:47], v[20:21], s[16:17], v[190:191]
	v_add_f64_e32 v[30:31], v[48:49], v[38:39]
	v_add_f64_e64 v[38:39], v[48:49], -v[38:39]
	s_delay_alu instid0(VALU_DEP_3) | instskip(NEXT) | instid1(VALU_DEP_1)
	v_fma_f64 v[46:47], v[16:17], s[12:13], v[46:47]
	v_fma_f64 v[8:9], v[8:9], s[14:15], v[46:47]
	v_fma_f64 v[46:47], v[22:23], s[18:19], v[188:189]
	s_delay_alu instid0(VALU_DEP_1) | instskip(NEXT) | instid1(VALU_DEP_1)
	v_fma_f64 v[46:47], v[18:19], s[2:3], v[46:47]
	v_fma_f64 v[10:11], v[10:11], s[14:15], v[46:47]
	v_fma_f64 v[46:47], v[34:35], s[16:17], v[186:187]
	s_delay_alu instid0(VALU_DEP_1) | instskip(NEXT) | instid1(VALU_DEP_1)
	;; [unrolled: 4-line block ×3, first 2 shown]
	v_fma_f64 v[46:47], v[26:27], s[2:3], v[46:47]
	v_fma_f64 v[42:43], v[42:43], s[14:15], v[46:47]
	s_delay_alu instid0(VALU_DEP_4) | instskip(NEXT) | instid1(VALU_DEP_1)
	v_mul_f64_e32 v[46:47], s[24:25], v[40:41]
	v_fma_f64 v[46:47], v[42:43], s[16:17], v[46:47]
	v_mul_f64_e32 v[42:43], s[24:25], v[42:43]
	s_delay_alu instid0(VALU_DEP_1) | instskip(NEXT) | instid1(VALU_DEP_3)
	v_fma_f64 v[48:49], v[40:41], s[18:19], v[42:43]
	v_add_f64_e32 v[40:41], v[8:9], v[46:47]
	v_add_f64_e64 v[46:47], v[8:9], -v[46:47]
	v_fma_f64 v[8:9], v[24:25], s[18:19], v[182:183]
	v_fma_f64 v[24:25], v[78:79], s[16:17], v[231:232]
	v_add_f64_e32 v[42:43], v[10:11], v[48:49]
	v_add_f64_e64 v[48:49], v[10:11], -v[48:49]
	v_fma_f64 v[10:11], v[16:17], s[18:19], v[176:177]
	v_fma_f64 v[16:17], v[18:19], s[16:17], v[178:179]
	;; [unrolled: 1-line block ×6, first 2 shown]
	v_add_f64_e32 v[34:35], v[94:95], v[102:103]
	v_add_f64_e32 v[94:95], v[130:131], v[140:141]
	v_fma_f64 v[102:103], v[110:111], s[18:19], v[208:209]
	v_fma_f64 v[10:11], v[20:21], s[12:13], v[10:11]
	;; [unrolled: 1-line block ×5, first 2 shown]
	v_add_f64_e32 v[32:33], v[86:87], v[100:101]
	v_fma_f64 v[26:27], v[70:71], s[12:13], v[26:27]
	v_fma_f64 v[100:101], v[118:119], s[16:17], v[148:149]
	;; [unrolled: 1-line block ×6, first 2 shown]
	v_mul_f64_e32 v[18:19], s[22:23], v[8:9]
	v_fma_f64 v[24:25], v[32:33], s[14:15], v[24:25]
	v_fma_f64 v[26:27], v[34:35], s[14:15], v[26:27]
	;; [unrolled: 1-line block ×3, first 2 shown]
	s_delay_alu instid0(VALU_DEP_4) | instskip(SKIP_1) | instid1(VALU_DEP_3)
	v_fma_f64 v[20:21], v[16:17], s[2:3], v[18:19]
	v_mul_f64_e32 v[16:17], s[22:23], v[16:17]
	v_fma_f64 v[100:101], v[94:95], s[14:15], v[100:101]
	s_delay_alu instid0(VALU_DEP_2) | instskip(NEXT) | instid1(VALU_DEP_4)
	v_fma_f64 v[8:9], v[8:9], s[12:13], v[16:17]
	v_add_f64_e32 v[16:17], v[10:11], v[20:21]
	v_add_f64_e64 v[20:21], v[10:11], -v[20:21]
	v_add_f64_e32 v[10:11], v[68:69], v[74:75]
	s_delay_alu instid0(VALU_DEP_4)
	v_add_f64_e32 v[18:19], v[22:23], v[8:9]
	v_add_f64_e64 v[22:23], v[22:23], -v[8:9]
	v_add_f64_e32 v[8:9], v[60:61], v[72:73]
	v_mul_f64_e32 v[60:61], s[20:21], v[24:25]
	v_mul_f64_e32 v[24:25], s[12:13], v[24:25]
	ds_store_b128 v248, v[204:207] offset:16
	ds_store_b128 v248, v[28:31] offset:32
	;; [unrolled: 1-line block ×8, first 2 shown]
	v_add_co_u32 v48, null, 0xc8, v255
	v_and_b32_e32 v16, 0xff, v210
	v_fma_f64 v[60:61], v[26:27], s[2:3], v[60:61]
	v_fma_f64 v[68:69], v[26:27], s[20:21], v[24:25]
	;; [unrolled: 1-line block ×4, first 2 shown]
	v_and_b32_e32 v49, 0xffff, v48
	s_delay_alu instid0(VALU_DEP_3) | instskip(NEXT) | instid1(VALU_DEP_3)
	v_fma_f64 v[24:25], v[44:45], s[2:3], v[24:25]
	v_fma_f64 v[26:27], v[50:51], s[12:13], v[26:27]
	s_delay_alu instid0(VALU_DEP_2) | instskip(NEXT) | instid1(VALU_DEP_2)
	v_fma_f64 v[72:73], v[8:9], s[14:15], v[24:25]
	v_fma_f64 v[74:75], v[10:11], s[14:15], v[26:27]
	s_delay_alu instid0(VALU_DEP_2)
	v_add_f64_e32 v[24:25], v[72:73], v[60:61]
	v_add_f64_e64 v[72:73], v[72:73], -v[60:61]
	v_add_f64_e32 v[60:61], v[56:57], v[64:65]
	v_fma_f64 v[56:57], v[70:71], s[16:17], v[239:240]
	v_add_f64_e32 v[26:27], v[74:75], v[68:69]
	v_add_f64_e64 v[74:75], v[74:75], -v[68:69]
	v_add_f64_e32 v[68:69], v[58:59], v[66:67]
	v_fma_f64 v[58:59], v[62:63], s[18:19], v[237:238]
	v_fma_f64 v[56:57], v[76:77], s[12:13], v[56:57]
	s_delay_alu instid0(VALU_DEP_2) | instskip(NEXT) | instid1(VALU_DEP_2)
	v_fma_f64 v[58:59], v[78:79], s[2:3], v[58:59]
	v_fma_f64 v[56:57], v[84:85], s[14:15], v[56:57]
	s_delay_alu instid0(VALU_DEP_2) | instskip(NEXT) | instid1(VALU_DEP_2)
	v_fma_f64 v[58:59], v[80:81], s[14:15], v[58:59]
	v_mul_f64_e32 v[64:65], s[16:17], v[56:57]
	s_delay_alu instid0(VALU_DEP_1) | instskip(SKIP_1) | instid1(VALU_DEP_1)
	v_fma_f64 v[64:65], v[58:59], s[14:15], v[64:65]
	v_mul_f64_e32 v[58:59], s[18:19], v[58:59]
	v_fma_f64 v[66:67], v[56:57], s[14:15], v[58:59]
	v_fma_f64 v[56:57], v[44:45], s[18:19], v[174:175]
	;; [unrolled: 1-line block ×3, first 2 shown]
	s_delay_alu instid0(VALU_DEP_2) | instskip(NEXT) | instid1(VALU_DEP_2)
	v_fma_f64 v[56:57], v[52:53], s[2:3], v[56:57]
	v_fma_f64 v[58:59], v[54:55], s[12:13], v[58:59]
	s_delay_alu instid0(VALU_DEP_2) | instskip(NEXT) | instid1(VALU_DEP_2)
	v_fma_f64 v[86:87], v[60:61], s[14:15], v[56:57]
	v_fma_f64 v[90:91], v[68:69], s[14:15], v[58:59]
	s_delay_alu instid0(VALU_DEP_2) | instskip(SKIP_2) | instid1(VALU_DEP_4)
	v_add_f64_e32 v[56:57], v[86:87], v[64:65]
	v_add_f64_e64 v[64:65], v[86:87], -v[64:65]
	v_fma_f64 v[86:87], v[44:45], s[16:17], v[174:175]
	v_add_f64_e32 v[58:59], v[90:91], v[66:67]
	v_add_f64_e64 v[66:67], v[90:91], -v[66:67]
	s_delay_alu instid0(VALU_DEP_3) | instskip(SKIP_1) | instid1(VALU_DEP_2)
	v_fma_f64 v[86:87], v[52:53], s[12:13], v[86:87]
	v_fma_f64 v[52:53], v[52:53], s[18:19], v[160:161]
	;; [unrolled: 1-line block ×4, first 2 shown]
	s_delay_alu instid0(VALU_DEP_3) | instskip(NEXT) | instid1(VALU_DEP_2)
	v_fma_f64 v[44:45], v[44:45], s[12:13], v[52:53]
	v_fma_f64 v[86:87], v[54:55], s[2:3], v[86:87]
	;; [unrolled: 1-line block ×3, first 2 shown]
	s_delay_alu instid0(VALU_DEP_3) | instskip(NEXT) | instid1(VALU_DEP_3)
	v_fma_f64 v[8:9], v[8:9], s[14:15], v[44:45]
	v_fma_f64 v[68:69], v[68:69], s[14:15], v[86:87]
	;; [unrolled: 1-line block ×3, first 2 shown]
	s_delay_alu instid0(VALU_DEP_4) | instskip(SKIP_1) | instid1(VALU_DEP_3)
	v_fma_f64 v[50:51], v[50:51], s[2:3], v[54:55]
	v_fma_f64 v[54:55], v[124:125], s[18:19], v[142:143]
	;; [unrolled: 1-line block ×3, first 2 shown]
	s_delay_alu instid0(VALU_DEP_3) | instskip(NEXT) | instid1(VALU_DEP_3)
	v_fma_f64 v[10:11], v[10:11], s[14:15], v[50:51]
	v_fma_f64 v[54:55], v[118:119], s[12:13], v[54:55]
	s_delay_alu instid0(VALU_DEP_3) | instskip(SKIP_1) | instid1(VALU_DEP_1)
	v_fma_f64 v[80:81], v[80:81], s[14:15], v[86:87]
	v_fma_f64 v[86:87], v[70:71], s[18:19], v[239:240]
	v_fma_f64 v[86:87], v[76:77], s[2:3], v[86:87]
	s_delay_alu instid0(VALU_DEP_1) | instskip(NEXT) | instid1(VALU_DEP_4)
	v_fma_f64 v[84:85], v[84:85], s[14:15], v[86:87]
	v_mul_f64_e32 v[86:87], s[24:25], v[80:81]
	s_delay_alu instid0(VALU_DEP_1) | instskip(SKIP_1) | instid1(VALU_DEP_1)
	v_fma_f64 v[90:91], v[84:85], s[16:17], v[86:87]
	v_mul_f64_e32 v[84:85], s[24:25], v[84:85]
	v_fma_f64 v[80:81], v[80:81], s[18:19], v[84:85]
	s_delay_alu instid0(VALU_DEP_3) | instskip(SKIP_2) | instid1(VALU_DEP_4)
	v_add_f64_e32 v[84:85], v[60:61], v[90:91]
	v_add_f64_e64 v[90:91], v[60:61], -v[90:91]
	v_fma_f64 v[60:61], v[78:79], s[18:19], v[231:232]
	v_add_f64_e32 v[86:87], v[68:69], v[80:81]
	v_add_f64_e64 v[92:93], v[68:69], -v[80:81]
	v_fma_f64 v[68:69], v[76:77], s[16:17], v[241:242]
	s_delay_alu instid0(VALU_DEP_4) | instskip(SKIP_1) | instid1(VALU_DEP_3)
	v_fma_f64 v[60:61], v[62:63], s[12:13], v[60:61]
	v_add_f64_e32 v[80:81], v[128:129], v[138:139]
	v_fma_f64 v[52:53], v[70:71], s[2:3], v[68:69]
	s_delay_alu instid0(VALU_DEP_3) | instskip(NEXT) | instid1(VALU_DEP_3)
	v_fma_f64 v[32:33], v[32:33], s[14:15], v[60:61]
	v_fma_f64 v[102:103], v[80:81], s[14:15], v[102:103]
	s_delay_alu instid0(VALU_DEP_3) | instskip(NEXT) | instid1(VALU_DEP_3)
	v_fma_f64 v[34:35], v[34:35], s[14:15], v[52:53]
	v_mul_f64_e32 v[44:45], s[22:23], v[32:33]
	s_delay_alu instid0(VALU_DEP_1) | instskip(SKIP_1) | instid1(VALU_DEP_2)
	v_fma_f64 v[44:45], v[34:35], s[2:3], v[44:45]
	v_mul_f64_e32 v[34:35], s[22:23], v[34:35]
	v_add_f64_e32 v[50:51], v[8:9], v[44:45]
	s_delay_alu instid0(VALU_DEP_2)
	v_fma_f64 v[32:33], v[32:33], s[12:13], v[34:35]
	v_add_f64_e64 v[60:61], v[8:9], -v[44:45]
	v_fma_f64 v[44:45], v[126:127], s[16:17], v[144:145]
	v_add_f64_e32 v[34:35], v[146:147], v[158:159]
	v_add_f64_e32 v[8:9], v[108:109], v[120:121]
	;; [unrolled: 1-line block ×3, first 2 shown]
	v_add_f64_e64 v[62:63], v[10:11], -v[32:33]
	v_add_f64_e32 v[32:33], v[132:133], v[156:157]
	v_fma_f64 v[44:45], v[110:111], s[2:3], v[44:45]
	v_fma_f64 v[54:55], v[34:35], s[14:15], v[54:55]
	v_add_f64_e32 v[10:11], v[116:117], v[122:123]
	s_delay_alu instid0(VALU_DEP_3) | instskip(NEXT) | instid1(VALU_DEP_1)
	v_fma_f64 v[44:45], v[32:33], s[14:15], v[44:45]
	v_mul_f64_e32 v[68:69], s[20:21], v[44:45]
	v_mul_f64_e32 v[44:45], s[12:13], v[44:45]
	s_delay_alu instid0(VALU_DEP_2) | instskip(SKIP_1) | instid1(VALU_DEP_3)
	v_fma_f64 v[76:77], v[54:55], s[2:3], v[68:69]
	v_fma_f64 v[68:69], v[98:99], s[18:19], v[229:230]
	;; [unrolled: 1-line block ×4, first 2 shown]
	s_delay_alu instid0(VALU_DEP_3) | instskip(NEXT) | instid1(VALU_DEP_2)
	v_fma_f64 v[68:69], v[88:89], s[12:13], v[68:69]
	v_fma_f64 v[54:55], v[82:83], s[2:3], v[54:55]
	s_delay_alu instid0(VALU_DEP_2) | instskip(NEXT) | instid1(VALU_DEP_2)
	v_fma_f64 v[78:79], v[10:11], s[14:15], v[68:69]
	v_fma_f64 v[54:55], v[8:9], s[14:15], v[54:55]
	s_delay_alu instid0(VALU_DEP_2)
	v_add_f64_e32 v[70:71], v[78:79], v[44:45]
	v_add_f64_e64 v[78:79], v[78:79], -v[44:45]
	v_add_f64_e32 v[44:45], v[104:105], v[112:113]
	v_mul_f64_e32 v[104:105], s[16:17], v[100:101]
	v_add_f64_e32 v[68:69], v[54:55], v[76:77]
	v_add_f64_e64 v[76:77], v[54:55], -v[76:77]
	v_add_f64_e32 v[54:55], v[106:107], v[114:115]
	s_delay_alu instid0(VALU_DEP_4) | instskip(SKIP_1) | instid1(VALU_DEP_1)
	v_fma_f64 v[104:105], v[102:103], s[14:15], v[104:105]
	v_mul_f64_e32 v[102:103], s[18:19], v[102:103]
	v_fma_f64 v[106:107], v[100:101], s[14:15], v[102:103]
	v_fma_f64 v[100:101], v[82:83], s[18:19], v[154:155]
	;; [unrolled: 1-line block ×3, first 2 shown]
	s_delay_alu instid0(VALU_DEP_2) | instskip(NEXT) | instid1(VALU_DEP_2)
	v_fma_f64 v[100:101], v[96:97], s[2:3], v[100:101]
	v_fma_f64 v[102:103], v[98:99], s[12:13], v[102:103]
	s_delay_alu instid0(VALU_DEP_2) | instskip(NEXT) | instid1(VALU_DEP_2)
	v_fma_f64 v[108:109], v[44:45], s[14:15], v[100:101]
	v_fma_f64 v[112:113], v[54:55], s[14:15], v[102:103]
	s_delay_alu instid0(VALU_DEP_2) | instskip(SKIP_2) | instid1(VALU_DEP_4)
	v_add_f64_e32 v[100:101], v[108:109], v[104:105]
	v_add_f64_e64 v[104:105], v[108:109], -v[104:105]
	v_fma_f64 v[108:109], v[82:83], s[16:17], v[154:155]
	v_add_f64_e32 v[102:103], v[112:113], v[106:107]
	v_add_f64_e64 v[106:107], v[112:113], -v[106:107]
	s_delay_alu instid0(VALU_DEP_3) | instskip(NEXT) | instid1(VALU_DEP_1)
	v_fma_f64 v[108:109], v[96:97], s[12:13], v[108:109]
	v_fma_f64 v[44:45], v[44:45], s[14:15], v[108:109]
	v_fma_f64 v[108:109], v[88:89], s[18:19], v[152:153]
	s_delay_alu instid0(VALU_DEP_1) | instskip(NEXT) | instid1(VALU_DEP_1)
	v_fma_f64 v[108:109], v[98:99], s[2:3], v[108:109]
	v_fma_f64 v[54:55], v[54:55], s[14:15], v[108:109]
	v_fma_f64 v[108:109], v[110:111], s[16:17], v[208:209]
	s_delay_alu instid0(VALU_DEP_1) | instskip(NEXT) | instid1(VALU_DEP_1)
	;; [unrolled: 4-line block ×3, first 2 shown]
	v_fma_f64 v[108:109], v[124:125], s[2:3], v[108:109]
	v_fma_f64 v[94:95], v[94:95], s[14:15], v[108:109]
	s_delay_alu instid0(VALU_DEP_4) | instskip(NEXT) | instid1(VALU_DEP_1)
	v_mul_f64_e32 v[108:109], s[24:25], v[80:81]
	v_fma_f64 v[108:109], v[94:95], s[16:17], v[108:109]
	v_mul_f64_e32 v[94:95], s[24:25], v[94:95]
	s_delay_alu instid0(VALU_DEP_2) | instskip(NEXT) | instid1(VALU_DEP_2)
	v_add_f64_e32 v[112:113], v[44:45], v[108:109]
	v_fma_f64 v[80:81], v[80:81], s[18:19], v[94:95]
	v_add_f64_e64 v[120:121], v[44:45], -v[108:109]
	v_fma_f64 v[44:45], v[126:127], s[18:19], v[144:145]
	v_fma_f64 v[94:95], v[124:125], s[16:17], v[142:143]
	s_delay_alu instid0(VALU_DEP_4) | instskip(SKIP_4) | instid1(VALU_DEP_3)
	v_add_f64_e32 v[114:115], v[54:55], v[80:81]
	v_add_f64_e64 v[122:123], v[54:55], -v[80:81]
	v_fma_f64 v[54:55], v[96:97], s[18:19], v[223:224]
	v_fma_f64 v[44:45], v[110:111], s[12:13], v[44:45]
	v_fma_f64 v[80:81], v[98:99], s[16:17], v[229:230]
	v_fma_f64 v[54:55], v[82:83], s[12:13], v[54:55]
	v_fma_f64 v[82:83], v[118:119], s[2:3], v[94:95]
	s_delay_alu instid0(VALU_DEP_4) | instskip(NEXT) | instid1(VALU_DEP_4)
	v_fma_f64 v[32:33], v[32:33], s[14:15], v[44:45]
	v_fma_f64 v[80:81], v[88:89], s[2:3], v[80:81]
	s_delay_alu instid0(VALU_DEP_4) | instskip(NEXT) | instid1(VALU_DEP_4)
	v_fma_f64 v[8:9], v[8:9], s[14:15], v[54:55]
	v_fma_f64 v[34:35], v[34:35], s[14:15], v[82:83]
	s_delay_alu instid0(VALU_DEP_4) | instskip(NEXT) | instid1(VALU_DEP_4)
	v_mul_f64_e32 v[44:45], s[22:23], v[32:33]
	v_fma_f64 v[10:11], v[10:11], s[14:15], v[80:81]
	s_delay_alu instid0(VALU_DEP_2) | instskip(SKIP_1) | instid1(VALU_DEP_2)
	v_fma_f64 v[44:45], v[34:35], s[2:3], v[44:45]
	v_mul_f64_e32 v[34:35], s[22:23], v[34:35]
	v_add_f64_e32 v[80:81], v[8:9], v[44:45]
	s_delay_alu instid0(VALU_DEP_2) | instskip(SKIP_1) | instid1(VALU_DEP_2)
	v_fma_f64 v[32:33], v[32:33], s[12:13], v[34:35]
	v_add_f64_e64 v[94:95], v[8:9], -v[44:45]
	v_add_f64_e32 v[82:83], v[10:11], v[32:33]
	v_add_f64_e64 v[96:97], v[10:11], -v[32:33]
	v_add_co_u32 v32, null, 0x64, v255
	s_delay_alu instid0(VALU_DEP_1) | instskip(SKIP_1) | instid1(VALU_DEP_2)
	v_mul_u32_u24_e32 v8, 10, v32
	v_and_b32_e32 v33, 0xff, v32
	v_lshlrev_b32_e32 v251, 4, v8
	ds_store_b128 v251, v[211:214]
	ds_store_b128 v251, v[24:27] offset:16
	ds_store_b128 v251, v[56:59] offset:32
	ds_store_b128 v251, v[84:87] offset:48
	ds_store_b128 v251, v[50:53] offset:64
	ds_store_b128 v251, v[4:7] offset:80
	ds_store_b128 v251, v[72:75] offset:96
	ds_store_b128 v251, v[64:67] offset:112
	ds_store_b128 v251, v[90:93] offset:128
	ds_store_b128 v251, v[60:63] offset:144
	v_mul_u32_u24_e32 v4, 10, v48
	s_delay_alu instid0(VALU_DEP_1)
	v_lshlrev_b32_e32 v196, 4, v4
	ds_store_b128 v196, v[0:3]
	ds_store_b128 v196, v[68:71] offset:16
	ds_store_b128 v196, v[100:103] offset:32
	;; [unrolled: 1-line block ×9, first 2 shown]
	v_mul_lo_u16 v0, 0xcd, v16
	global_wb scope:SCOPE_SE
	s_wait_dscnt 0x0
	s_barrier_signal -1
	s_barrier_wait -1
	global_inv scope:SCOPE_SE
	v_lshrrev_b16 v21, 11, v0
	scratch_store_b32 off, v255, off offset:488 ; 4-byte Folded Spill
	v_mul_lo_u16 v0, v21, 10
	v_and_b32_e32 v21, 0xffff, v21
	s_delay_alu instid0(VALU_DEP_2) | instskip(NEXT) | instid1(VALU_DEP_2)
	v_sub_nc_u16 v0, v210, v0
	v_mul_u32_u24_e32 v21, 30, v21
	s_delay_alu instid0(VALU_DEP_2)
	v_and_b32_e32 v22, 0xff, v0
	ds_load_b128 v[0:3], v150 offset:16000
	v_lshlrev_b32_e32 v8, 5, v22
	v_add_lshl_u32 v21, v21, v22, 4
	global_load_b128 v[9:12], v8, s[10:11]
	scratch_store_b32 off, v21, off offset:900 ; 4-byte Folded Spill
	s_wait_loadcnt_dscnt 0x0
	v_mul_f64_e32 v[4:5], v[2:3], v[11:12]
	scratch_store_b128 off, v[9:12], off offset:492 ; 16-byte Folded Spill
	v_fma_f64 v[4:5], v[0:1], v[9:10], -v[4:5]
	v_mul_f64_e32 v[0:1], v[0:1], v[11:12]
	s_delay_alu instid0(VALU_DEP_1)
	v_fma_f64 v[6:7], v[2:3], v[9:10], v[0:1]
	global_load_b128 v[10:13], v8, s[10:11] offset:16
	ds_load_b128 v[0:3], v150 offset:32000
	s_wait_loadcnt_dscnt 0x0
	v_mul_f64_e32 v[8:9], v[2:3], v[12:13]
	scratch_store_b128 off, v[10:13], off offset:508 ; 16-byte Folded Spill
	v_fma_f64 v[8:9], v[0:1], v[10:11], -v[8:9]
	v_mul_f64_e32 v[0:1], v[0:1], v[12:13]
	s_delay_alu instid0(VALU_DEP_1) | instskip(SKIP_1) | instid1(VALU_DEP_1)
	v_fma_f64 v[10:11], v[2:3], v[10:11], v[0:1]
	v_mul_lo_u16 v0, 0xcd, v33
	v_lshrrev_b16 v23, 11, v0
	s_delay_alu instid0(VALU_DEP_1) | instskip(NEXT) | instid1(VALU_DEP_1)
	v_mul_lo_u16 v0, v23, 10
	v_sub_nc_u16 v0, v32, v0
	s_delay_alu instid0(VALU_DEP_1)
	v_and_b32_e32 v24, 0xff, v0
	ds_load_b128 v[0:3], v150 offset:17600
	v_lshlrev_b32_e32 v17, 5, v24
	global_load_b128 v[25:28], v17, s[10:11]
	s_wait_loadcnt_dscnt 0x0
	v_mul_f64_e32 v[12:13], v[2:3], v[27:28]
	scratch_store_b128 off, v[25:28], off offset:524 ; 16-byte Folded Spill
	v_fma_f64 v[12:13], v[0:1], v[25:26], -v[12:13]
	v_mul_f64_e32 v[0:1], v[0:1], v[27:28]
	s_delay_alu instid0(VALU_DEP_1)
	v_fma_f64 v[14:15], v[2:3], v[25:26], v[0:1]
	global_load_b128 v[25:28], v17, s[10:11] offset:16
	ds_load_b128 v[0:3], v150 offset:33600
	s_wait_loadcnt_dscnt 0x0
	v_mul_f64_e32 v[17:18], v[2:3], v[27:28]
	scratch_store_b128 off, v[25:28], off offset:540 ; 16-byte Folded Spill
	v_fma_f64 v[58:59], v[0:1], v[25:26], -v[17:18]
	v_mul_f64_e32 v[0:1], v[0:1], v[27:28]
	s_delay_alu instid0(VALU_DEP_1) | instskip(SKIP_1) | instid1(VALU_DEP_1)
	v_fma_f64 v[54:55], v[2:3], v[25:26], v[0:1]
	v_mul_u32_u24_e32 v0, 0xcccd, v49
	v_lshrrev_b32_e32 v25, 19, v0
	s_delay_alu instid0(VALU_DEP_1) | instskip(NEXT) | instid1(VALU_DEP_1)
	v_mul_lo_u16 v0, v25, 10
	v_sub_nc_u16 v26, v48, v0
	s_delay_alu instid0(VALU_DEP_1) | instskip(NEXT) | instid1(VALU_DEP_1)
	v_lshlrev_b16 v0, 1, v26
	v_and_b32_e32 v0, 0xffff, v0
	s_delay_alu instid0(VALU_DEP_1)
	v_lshlrev_b32_e32 v19, 4, v0
	ds_load_b128 v[0:3], v150 offset:19200
	global_load_b128 v[27:30], v19, s[10:11]
	s_wait_loadcnt_dscnt 0x0
	v_mul_f64_e32 v[17:18], v[2:3], v[29:30]
	scratch_store_b128 off, v[27:30], off offset:556 ; 16-byte Folded Spill
	v_fma_f64 v[70:71], v[0:1], v[27:28], -v[17:18]
	v_mul_f64_e32 v[0:1], v[0:1], v[29:30]
	s_delay_alu instid0(VALU_DEP_1)
	v_fma_f64 v[66:67], v[2:3], v[27:28], v[0:1]
	global_load_b128 v[27:30], v19, s[10:11] offset:16
	ds_load_b128 v[0:3], v150 offset:35200
	s_wait_loadcnt_dscnt 0x0
	v_mul_f64_e32 v[17:18], v[2:3], v[29:30]
	scratch_store_b128 off, v[27:30], off offset:572 ; 16-byte Folded Spill
	v_fma_f64 v[72:73], v[0:1], v[27:28], -v[17:18]
	v_mul_f64_e32 v[0:1], v[0:1], v[29:30]
	s_delay_alu instid0(VALU_DEP_1) | instskip(SKIP_1) | instid1(VALU_DEP_1)
	v_fma_f64 v[68:69], v[2:3], v[27:28], v[0:1]
	v_add_co_u32 v0, null, 0x12c, v255
	v_and_b32_e32 v1, 0xffff, v0
	s_delay_alu instid0(VALU_DEP_1) | instskip(NEXT) | instid1(VALU_DEP_1)
	v_mul_u32_u24_e32 v1, 0xcccd, v1
	v_lshrrev_b32_e32 v27, 19, v1
	s_delay_alu instid0(VALU_DEP_1) | instskip(NEXT) | instid1(VALU_DEP_1)
	v_mul_lo_u16 v1, v27, 10
	v_sub_nc_u16 v28, v0, v1
	s_delay_alu instid0(VALU_DEP_1) | instskip(NEXT) | instid1(VALU_DEP_1)
	v_lshlrev_b16 v0, 1, v28
	v_and_b32_e32 v0, 0xffff, v0
	s_delay_alu instid0(VALU_DEP_1)
	v_lshlrev_b32_e32 v19, 4, v0
	ds_load_b128 v[0:3], v150 offset:20800
	global_load_b128 v[34:37], v19, s[10:11]
	s_wait_loadcnt_dscnt 0x0
	v_mul_f64_e32 v[17:18], v[2:3], v[36:37]
	scratch_store_b128 off, v[34:37], off offset:588 ; 16-byte Folded Spill
	v_fma_f64 v[82:83], v[0:1], v[34:35], -v[17:18]
	v_mul_f64_e32 v[0:1], v[0:1], v[36:37]
	s_delay_alu instid0(VALU_DEP_1)
	v_fma_f64 v[78:79], v[2:3], v[34:35], v[0:1]
	global_load_b128 v[34:37], v19, s[10:11] offset:16
	ds_load_b128 v[0:3], v150 offset:36800
	s_wait_loadcnt_dscnt 0x0
	v_mul_f64_e32 v[17:18], v[2:3], v[36:37]
	scratch_store_b128 off, v[34:37], off offset:604 ; 16-byte Folded Spill
	v_fma_f64 v[84:85], v[0:1], v[34:35], -v[17:18]
	v_mul_f64_e32 v[0:1], v[0:1], v[36:37]
	s_delay_alu instid0(VALU_DEP_1) | instskip(SKIP_1) | instid1(VALU_DEP_1)
	v_fma_f64 v[80:81], v[2:3], v[34:35], v[0:1]
	v_add_co_u32 v0, null, 0x190, v255
	v_and_b32_e32 v1, 0xffff, v0
	s_delay_alu instid0(VALU_DEP_1) | instskip(NEXT) | instid1(VALU_DEP_1)
	;; [unrolled: 31-line block ×7, first 2 shown]
	v_mul_u32_u24_e32 v1, 0xcccd, v1
	v_lshrrev_b32_e32 v19, 19, v1
	s_delay_alu instid0(VALU_DEP_1) | instskip(NEXT) | instid1(VALU_DEP_1)
	v_mul_lo_u16 v1, v19, 10
	v_sub_nc_u16 v20, v0, v1
	s_delay_alu instid0(VALU_DEP_1) | instskip(NEXT) | instid1(VALU_DEP_1)
	v_lshlrev_b16 v0, 1, v20
	v_and_b32_e32 v0, 0xffff, v0
	s_delay_alu instid0(VALU_DEP_1)
	v_lshlrev_b32_e32 v41, 4, v0
	ds_load_b128 v[0:3], v150 offset:30400
	global_load_b128 v[42:45], v41, s[10:11]
	s_wait_loadcnt_dscnt 0x0
	v_mul_f64_e32 v[39:40], v[2:3], v[44:45]
	scratch_store_b128 off, v[42:45], off offset:780 ; 16-byte Folded Spill
	v_fma_f64 v[142:143], v[0:1], v[42:43], -v[39:40]
	v_mul_f64_e32 v[0:1], v[0:1], v[44:45]
	s_delay_alu instid0(VALU_DEP_1)
	v_fma_f64 v[144:145], v[2:3], v[42:43], v[0:1]
	global_load_b128 v[41:44], v41, s[10:11] offset:16
	ds_load_b128 v[0:3], v150 offset:46400
	s_wait_loadcnt_dscnt 0x0
	v_mul_f64_e32 v[39:40], v[2:3], v[43:44]
	scratch_store_b128 off, v[41:44], off offset:796 ; 16-byte Folded Spill
	v_fma_f64 v[146:147], v[0:1], v[41:42], -v[39:40]
	v_mul_f64_e32 v[0:1], v[0:1], v[43:44]
	v_add_f64_e32 v[39:40], v[4:5], v[8:9]
	s_delay_alu instid0(VALU_DEP_2)
	v_fma_f64 v[148:149], v[2:3], v[41:42], v[0:1]
	ds_load_b128 v[0:3], v150
	s_wait_dscnt 0x0
	v_fma_f64 v[45:46], v[39:40], -0.5, v[0:1]
	v_add_f64_e32 v[39:40], v[6:7], v[10:11]
	v_add_f64_e32 v[0:1], v[0:1], v[4:5]
	s_delay_alu instid0(VALU_DEP_2) | instskip(SKIP_2) | instid1(VALU_DEP_4)
	v_fma_f64 v[52:53], v[39:40], -0.5, v[2:3]
	v_add_f64_e32 v[2:3], v[2:3], v[6:7]
	v_add_f64_e64 v[6:7], v[6:7], -v[10:11]
	v_add_f64_e32 v[39:40], v[0:1], v[8:9]
	v_add_f64_e64 v[0:1], v[4:5], -v[8:9]
	;; [unrolled: 2-line block ×3, first 2 shown]
	v_add_f64_e32 v[41:42], v[2:3], v[10:11]
	v_fma_f64 v[43:44], v[6:7], s[26:27], v[45:46]
	v_fma_f64 v[50:51], v[6:7], s[28:29], v[45:46]
	v_add_f64_e32 v[6:7], v[14:15], v[54:55]
	v_fma_f64 v[45:46], v[0:1], s[28:29], v[52:53]
	v_fma_f64 v[52:53], v[0:1], s[26:27], v[52:53]
	ds_load_b128 v[0:3], v150 offset:1600
	v_add_f64_e32 v[10:11], v[136:137], v[140:141]
	s_wait_dscnt 0x0
	v_fma_f64 v[4:5], v[4:5], -0.5, v[0:1]
	v_add_f64_e32 v[0:1], v[0:1], v[12:13]
	v_fma_f64 v[6:7], v[6:7], -0.5, v[2:3]
	v_add_f64_e32 v[2:3], v[2:3], v[14:15]
	v_add_f64_e64 v[14:15], v[136:137], -v[140:141]
	v_fma_f64 v[62:63], v[8:9], s[28:29], v[4:5]
	s_delay_alu instid0(VALU_DEP_3)
	v_add_f64_e32 v[56:57], v[2:3], v[54:55]
	v_add_f64_e32 v[54:55], v[0:1], v[58:59]
	v_add_f64_e64 v[0:1], v[12:13], -v[58:59]
	v_fma_f64 v[58:59], v[8:9], s[26:27], v[4:5]
	v_add_f64_e32 v[4:5], v[70:71], v[72:73]
	v_add_f64_e64 v[8:9], v[66:67], -v[68:69]
	s_delay_alu instid0(VALU_DEP_4)
	v_fma_f64 v[60:61], v[0:1], s[28:29], v[6:7]
	v_fma_f64 v[64:65], v[0:1], s[26:27], v[6:7]
	ds_load_b128 v[0:3], v150 offset:3200
	v_add_f64_e32 v[6:7], v[66:67], v[68:69]
	s_wait_dscnt 0x0
	v_fma_f64 v[4:5], v[4:5], -0.5, v[0:1]
	v_add_f64_e32 v[0:1], v[0:1], v[70:71]
	s_delay_alu instid0(VALU_DEP_3) | instskip(SKIP_1) | instid1(VALU_DEP_4)
	v_fma_f64 v[6:7], v[6:7], -0.5, v[2:3]
	v_add_f64_e32 v[2:3], v[2:3], v[66:67]
	v_fma_f64 v[74:75], v[8:9], s[28:29], v[4:5]
	s_delay_alu instid0(VALU_DEP_4)
	v_add_f64_e32 v[66:67], v[0:1], v[72:73]
	v_add_f64_e64 v[0:1], v[70:71], -v[72:73]
	v_fma_f64 v[70:71], v[8:9], s[26:27], v[4:5]
	v_add_f64_e32 v[4:5], v[82:83], v[84:85]
	v_add_f64_e64 v[8:9], v[78:79], -v[80:81]
	v_add_f64_e32 v[68:69], v[2:3], v[68:69]
	v_fma_f64 v[72:73], v[0:1], s[28:29], v[6:7]
	v_fma_f64 v[76:77], v[0:1], s[26:27], v[6:7]
	ds_load_b128 v[0:3], v150 offset:4800
	v_add_f64_e32 v[6:7], v[78:79], v[80:81]
	s_wait_dscnt 0x0
	v_fma_f64 v[4:5], v[4:5], -0.5, v[0:1]
	v_add_f64_e32 v[0:1], v[0:1], v[82:83]
	s_delay_alu instid0(VALU_DEP_3) | instskip(SKIP_1) | instid1(VALU_DEP_4)
	v_fma_f64 v[6:7], v[6:7], -0.5, v[2:3]
	v_add_f64_e32 v[2:3], v[2:3], v[78:79]
	v_fma_f64 v[86:87], v[8:9], s[28:29], v[4:5]
	s_delay_alu instid0(VALU_DEP_4)
	v_add_f64_e32 v[78:79], v[0:1], v[84:85]
	v_add_f64_e64 v[0:1], v[82:83], -v[84:85]
	v_fma_f64 v[82:83], v[8:9], s[26:27], v[4:5]
	v_add_f64_e32 v[4:5], v[94:95], v[96:97]
	v_add_f64_e64 v[8:9], v[90:91], -v[92:93]
	v_add_f64_e32 v[80:81], v[2:3], v[80:81]
	;; [unrolled: 18-line block ×5, first 2 shown]
	v_fma_f64 v[120:121], v[0:1], s[28:29], v[6:7]
	v_fma_f64 v[124:125], v[0:1], s[26:27], v[6:7]
	v_add_f64_e32 v[6:7], v[126:127], v[128:129]
	ds_load_b128 v[0:3], v150 offset:11200
	s_wait_dscnt 0x0
	v_fma_f64 v[4:5], v[4:5], -0.5, v[0:1]
	v_add_f64_e32 v[0:1], v[0:1], v[130:131]
	v_fma_f64 v[6:7], v[6:7], -0.5, v[2:3]
	v_add_f64_e32 v[2:3], v[2:3], v[126:127]
	s_delay_alu instid0(VALU_DEP_3) | instskip(SKIP_1) | instid1(VALU_DEP_3)
	v_add_f64_e32 v[126:127], v[0:1], v[132:133]
	v_fma_f64 v[0:1], v[8:9], s[28:29], v[4:5]
	v_add_f64_e32 v[128:129], v[2:3], v[128:129]
	v_add_f64_e64 v[2:3], v[130:131], -v[132:133]
	v_fma_f64 v[130:131], v[8:9], s[26:27], v[4:5]
	v_add_f64_e32 v[8:9], v[134:135], v[138:139]
	s_delay_alu instid0(VALU_DEP_3)
	v_fma_f64 v[132:133], v[2:3], s[28:29], v[6:7]
	v_fma_f64 v[2:3], v[2:3], s[26:27], v[6:7]
	ds_load_b128 v[4:7], v150 offset:12800
	s_wait_dscnt 0x0
	v_fma_f64 v[8:9], v[8:9], -0.5, v[4:5]
	v_fma_f64 v[10:11], v[10:11], -0.5, v[6:7]
	v_add_f64_e32 v[4:5], v[4:5], v[134:135]
	v_add_f64_e64 v[134:135], v[134:135], -v[138:139]
	v_add_f64_e32 v[6:7], v[6:7], v[136:137]
	v_fma_f64 v[12:13], v[14:15], s[26:27], v[8:9]
	v_fma_f64 v[8:9], v[14:15], s[28:29], v[8:9]
	v_add_f64_e32 v[4:5], v[4:5], v[138:139]
	v_fma_f64 v[14:15], v[134:135], s[28:29], v[10:11]
	v_fma_f64 v[10:11], v[134:135], s[26:27], v[10:11]
	ds_load_b128 v[134:137], v150 offset:14400
	global_wb scope:SCOPE_SE
	s_wait_storecnt_dscnt 0x0
	s_barrier_signal -1
	s_barrier_wait -1
	global_inv scope:SCOPE_SE
	ds_store_b128 v21, v[39:42]
	ds_store_b128 v21, v[43:46] offset:160
	ds_store_b128 v21, v[50:53] offset:320
	v_and_b32_e32 v21, 0xffff, v23
	v_add_f64_e32 v[138:139], v[142:143], v[146:147]
	v_add_f64_e32 v[6:7], v[6:7], v[140:141]
	s_delay_alu instid0(VALU_DEP_3) | instskip(NEXT) | instid1(VALU_DEP_1)
	v_mul_u32_u24_e32 v21, 30, v21
	v_add_lshl_u32 v21, v21, v24, 4
	scratch_store_b32 off, v21, off offset:896 ; 4-byte Folded Spill
	ds_store_b128 v21, v[54:57]
	ds_store_b128 v21, v[58:61] offset:160
	ds_store_b128 v21, v[62:65] offset:320
	v_mad_u16 v21, v25, 30, v26
	s_delay_alu instid0(VALU_DEP_1) | instskip(NEXT) | instid1(VALU_DEP_1)
	v_and_b32_e32 v21, 0xffff, v21
	v_lshlrev_b32_e32 v21, 4, v21
	scratch_store_b32 off, v21, off offset:892 ; 4-byte Folded Spill
	ds_store_b128 v21, v[66:69]
	ds_store_b128 v21, v[70:73] offset:160
	ds_store_b128 v21, v[74:77] offset:320
	v_mad_u16 v21, v27, 30, v28
	s_delay_alu instid0(VALU_DEP_1) | instskip(SKIP_3) | instid1(VALU_DEP_4)
	v_and_b32_e32 v21, 0xffff, v21
	v_fma_f64 v[140:141], v[138:139], -0.5, v[134:135]
	v_add_f64_e32 v[138:139], v[144:145], v[148:149]
	v_add_f64_e32 v[134:135], v[134:135], v[142:143]
	v_lshlrev_b32_e32 v21, 4, v21
	scratch_store_b32 off, v21, off offset:824 ; 4-byte Folded Spill
	ds_store_b128 v21, v[78:81]
	ds_store_b128 v21, v[82:85] offset:160
	ds_store_b128 v21, v[86:89] offset:320
	v_mad_u16 v21, v29, 30, v30
	s_delay_alu instid0(VALU_DEP_1) | instskip(NEXT) | instid1(VALU_DEP_1)
	v_and_b32_e32 v21, 0xffff, v21
	v_lshlrev_b32_e32 v21, 4, v21
	scratch_store_b32 off, v21, off offset:820 ; 4-byte Folded Spill
	ds_store_b128 v21, v[90:93]
	ds_store_b128 v21, v[94:97] offset:160
	ds_store_b128 v21, v[98:101] offset:320
	v_mad_u16 v21, v31, 30, v34
	s_delay_alu instid0(VALU_DEP_1) | instskip(NEXT) | instid1(VALU_DEP_1)
	v_and_b32_e32 v21, 0xffff, v21
	v_lshlrev_b32_e32 v21, 4, v21
	v_fma_f64 v[151:152], v[138:139], -0.5, v[136:137]
	v_add_f64_e32 v[136:137], v[136:137], v[144:145]
	v_add_f64_e64 v[144:145], v[144:145], -v[148:149]
	v_add_f64_e32 v[134:135], v[134:135], v[146:147]
	scratch_store_b32 off, v21, off offset:816 ; 4-byte Folded Spill
	ds_store_b128 v21, v[102:105]
	ds_store_b128 v21, v[106:109] offset:160
	ds_store_b128 v21, v[110:113] offset:320
	v_mad_u16 v21, v35, 30, v36
	v_add_f64_e64 v[146:147], v[142:143], -v[146:147]
	s_delay_alu instid0(VALU_DEP_2) | instskip(NEXT) | instid1(VALU_DEP_1)
	v_and_b32_e32 v21, 0xffff, v21
	v_lshlrev_b32_e32 v21, 4, v21
	scratch_store_b32 off, v21, off offset:812 ; 4-byte Folded Spill
	ds_store_b128 v21, v[114:117]
	ds_store_b128 v21, v[118:121] offset:160
	ds_store_b128 v21, v[122:125] offset:320
	v_mad_u16 v21, v37, 30, v38
	s_delay_alu instid0(VALU_DEP_1) | instskip(NEXT) | instid1(VALU_DEP_1)
	v_and_b32_e32 v21, 0xffff, v21
	v_lshlrev_b32_e32 v21, 4, v21
	ds_store_b128 v21, v[126:129]
	ds_store_b128 v21, v[130:133] offset:160
	ds_store_b128 v21, v[0:3] offset:320
	v_mad_u16 v0, v17, 30, v18
	v_add_f64_e32 v[136:137], v[136:137], v[148:149]
	v_fma_f64 v[138:139], v[144:145], s[26:27], v[140:141]
	v_fma_f64 v[142:143], v[144:145], s[28:29], v[140:141]
	s_delay_alu instid0(VALU_DEP_4) | instskip(SKIP_2) | instid1(VALU_DEP_3)
	v_and_b32_e32 v0, 0xffff, v0
	v_fma_f64 v[140:141], v[146:147], s[28:29], v[151:152]
	v_fma_f64 v[144:145], v[146:147], s[26:27], v[151:152]
	v_lshlrev_b32_e32 v0, 4, v0
	s_clause 0x1
	scratch_store_b32 off, v21, off offset:1276
	scratch_store_b32 off, v0, off offset:1208
	ds_store_b128 v0, v[4:7]
	ds_store_b128 v0, v[12:15] offset:160
	ds_store_b128 v0, v[8:11] offset:320
	v_mad_u16 v0, v19, 30, v20
	s_delay_alu instid0(VALU_DEP_1) | instskip(NEXT) | instid1(VALU_DEP_1)
	v_and_b32_e32 v0, 0xffff, v0
	v_lshlrev_b32_e32 v207, 4, v0
	v_mul_lo_u16 v0, 0x89, v16
	ds_store_b128 v207, v[134:137]
	ds_store_b128 v207, v[138:141] offset:160
	ds_store_b128 v207, v[142:145] offset:320
	v_lshrrev_b16 v148, 12, v0
	global_wb scope:SCOPE_SE
	s_wait_storecnt_dscnt 0x0
	s_barrier_signal -1
	s_barrier_wait -1
	global_inv scope:SCOPE_SE
	v_mul_lo_u16 v0, v148, 30
	v_and_b32_e32 v148, 0xffff, v148
	s_delay_alu instid0(VALU_DEP_2) | instskip(NEXT) | instid1(VALU_DEP_2)
	v_sub_nc_u16 v0, v210, v0
	v_mul_u32_u24_e32 v148, 0x12c, v148
	s_delay_alu instid0(VALU_DEP_2)
	v_and_b32_e32 v156, 0xff, v0
	ds_load_b128 v[0:3], v150 offset:4800
	v_mad_co_u64_u32 v[4:5], null, 0x90, v156, s[10:11]
	v_add_lshl_u32 v184, v148, v156, 4
	global_load_b128 v[8:11], v[4:5], off offset:320
	s_wait_loadcnt_dscnt 0x0
	v_mul_f64_e32 v[6:7], v[2:3], v[10:11]
	scratch_store_b128 off, v[8:11], off offset:828 ; 16-byte Folded Spill
	v_fma_f64 v[16:17], v[0:1], v[8:9], -v[6:7]
	v_mul_f64_e32 v[0:1], v[0:1], v[10:11]
	s_delay_alu instid0(VALU_DEP_1)
	v_fma_f64 v[18:19], v[2:3], v[8:9], v[0:1]
	global_load_b128 v[8:11], v[4:5], off offset:336
	ds_load_b128 v[0:3], v150 offset:9600
	s_wait_loadcnt_dscnt 0x0
	v_mul_f64_e32 v[6:7], v[2:3], v[10:11]
	scratch_store_b128 off, v[8:11], off offset:844 ; 16-byte Folded Spill
	v_fma_f64 v[20:21], v[0:1], v[8:9], -v[6:7]
	v_mul_f64_e32 v[0:1], v[0:1], v[10:11]
	s_delay_alu instid0(VALU_DEP_1)
	v_fma_f64 v[22:23], v[2:3], v[8:9], v[0:1]
	global_load_b128 v[8:11], v[4:5], off offset:352
	ds_load_b128 v[0:3], v150 offset:14400
	;; [unrolled: 9-line block ×3, first 2 shown]
	s_wait_loadcnt_dscnt 0x0
	v_mul_f64_e32 v[6:7], v[2:3], v[10:11]
	scratch_store_b128 off, v[8:11], off offset:876 ; 16-byte Folded Spill
	v_fma_f64 v[28:29], v[0:1], v[8:9], -v[6:7]
	v_mul_f64_e32 v[0:1], v[0:1], v[10:11]
	s_delay_alu instid0(VALU_DEP_2) | instskip(NEXT) | instid1(VALU_DEP_2)
	v_add_f64_e64 v[148:149], v[20:21], -v[28:29]
	v_fma_f64 v[30:31], v[2:3], v[8:9], v[0:1]
	global_load_b128 v[8:11], v[4:5], off offset:384
	ds_load_b128 v[0:3], v150 offset:24000
	s_wait_loadcnt_dscnt 0x0
	v_mul_f64_e32 v[6:7], v[2:3], v[10:11]
	scratch_store_b128 off, v[8:11], off offset:904 ; 16-byte Folded Spill
	v_fma_f64 v[46:47], v[0:1], v[8:9], -v[6:7]
	v_mul_f64_e32 v[0:1], v[0:1], v[10:11]
	s_delay_alu instid0(VALU_DEP_1)
	v_fma_f64 v[44:45], v[2:3], v[8:9], v[0:1]
	global_load_b128 v[8:11], v[4:5], off offset:400
	ds_load_b128 v[0:3], v150 offset:28800
	s_wait_loadcnt_dscnt 0x0
	v_mul_f64_e32 v[6:7], v[2:3], v[10:11]
	scratch_store_b128 off, v[8:11], off offset:920 ; 16-byte Folded Spill
	v_fma_f64 v[52:53], v[0:1], v[8:9], -v[6:7]
	v_mul_f64_e32 v[0:1], v[0:1], v[10:11]
	s_delay_alu instid0(VALU_DEP_2) | instskip(NEXT) | instid1(VALU_DEP_2)
	v_add_f64_e64 v[189:190], v[28:29], -v[52:53]
	v_fma_f64 v[54:55], v[2:3], v[8:9], v[0:1]
	global_load_b128 v[8:11], v[4:5], off offset:416
	ds_load_b128 v[0:3], v150 offset:33600
	v_add_f64_e64 v[185:186], v[30:31], -v[54:55]
	s_wait_loadcnt_dscnt 0x0
	v_mul_f64_e32 v[6:7], v[2:3], v[10:11]
	scratch_store_b128 off, v[8:11], off offset:936 ; 16-byte Folded Spill
	v_fma_f64 v[58:59], v[0:1], v[8:9], -v[6:7]
	v_mul_f64_e32 v[0:1], v[0:1], v[10:11]
	s_delay_alu instid0(VALU_DEP_2) | instskip(NEXT) | instid1(VALU_DEP_2)
	v_add_f64_e64 v[176:177], v[46:47], -v[58:59]
	v_fma_f64 v[56:57], v[2:3], v[8:9], v[0:1]
	global_load_b128 v[8:11], v[4:5], off offset:432
	ds_load_b128 v[0:3], v150 offset:38400
	v_add_f64_e64 v[180:181], v[44:45], -v[56:57]
	;; [unrolled: 11-line block ×3, first 2 shown]
	s_wait_loadcnt_dscnt 0x0
	v_mul_f64_e32 v[4:5], v[2:3], v[8:9]
	scratch_store_b128 off, v[6:9], off offset:968 ; 16-byte Folded Spill
	v_fma_f64 v[94:95], v[0:1], v[6:7], -v[4:5]
	v_mul_f64_e32 v[0:1], v[0:1], v[8:9]
	s_delay_alu instid0(VALU_DEP_2) | instskip(NEXT) | instid1(VALU_DEP_2)
	v_add_f64_e64 v[174:175], v[26:27], -v[94:95]
	v_fma_f64 v[92:93], v[2:3], v[6:7], v[0:1]
	v_mul_lo_u16 v0, 0x89, v33
	s_delay_alu instid0(VALU_DEP_1) | instskip(NEXT) | instid1(VALU_DEP_1)
	v_lshrrev_b16 v152, 12, v0
	v_mul_lo_u16 v0, v152, 30
	s_delay_alu instid0(VALU_DEP_1) | instskip(NEXT) | instid1(VALU_DEP_1)
	v_sub_nc_u16 v0, v32, v0
	v_and_b32_e32 v153, 0xff, v0
	ds_load_b128 v[0:3], v150 offset:6400
	v_mad_co_u64_u32 v[4:5], null, 0x90, v153, s[10:11]
	global_load_b128 v[8:11], v[4:5], off offset:320
	v_add_f64_e64 v[178:179], v[24:25], -v[92:93]
	s_wait_loadcnt_dscnt 0x0
	v_mul_f64_e32 v[6:7], v[2:3], v[10:11]
	scratch_store_b128 off, v[8:11], off offset:984 ; 16-byte Folded Spill
	v_fma_f64 v[32:33], v[0:1], v[8:9], -v[6:7]
	v_mul_f64_e32 v[0:1], v[0:1], v[10:11]
	s_delay_alu instid0(VALU_DEP_1)
	v_fma_f64 v[34:35], v[2:3], v[8:9], v[0:1]
	global_load_b128 v[8:11], v[4:5], off offset:336
	ds_load_b128 v[0:3], v150 offset:11200
	s_wait_loadcnt_dscnt 0x0
	v_mul_f64_e32 v[6:7], v[2:3], v[10:11]
	scratch_store_b128 off, v[8:11], off offset:1000 ; 16-byte Folded Spill
	v_fma_f64 v[36:37], v[0:1], v[8:9], -v[6:7]
	v_mul_f64_e32 v[0:1], v[0:1], v[10:11]
	s_delay_alu instid0(VALU_DEP_1)
	v_fma_f64 v[38:39], v[2:3], v[8:9], v[0:1]
	global_load_b128 v[8:11], v[4:5], off offset:352
	ds_load_b128 v[0:3], v150 offset:16000
	;; [unrolled: 9-line block ×8, first 2 shown]
	s_wait_loadcnt_dscnt 0x0
	v_mul_f64_e32 v[4:5], v[2:3], v[8:9]
	scratch_store_b128 off, v[6:9], off offset:1112 ; 16-byte Folded Spill
	v_fma_f64 v[106:107], v[0:1], v[6:7], -v[4:5]
	v_mul_f64_e32 v[0:1], v[0:1], v[8:9]
	s_delay_alu instid0(VALU_DEP_1) | instskip(SKIP_1) | instid1(VALU_DEP_1)
	v_fma_f64 v[104:105], v[2:3], v[6:7], v[0:1]
	v_mul_u32_u24_e32 v0, 0x8889, v49
	v_lshrrev_b32_e32 v154, 20, v0
	s_delay_alu instid0(VALU_DEP_1) | instskip(NEXT) | instid1(VALU_DEP_1)
	v_mul_lo_u16 v0, v154, 30
	v_sub_nc_u16 v155, v48, v0
	s_delay_alu instid0(VALU_DEP_1) | instskip(NEXT) | instid1(VALU_DEP_1)
	v_mul_lo_u16 v0, 0x90, v155
	v_and_b32_e32 v0, 0xffff, v0
	s_delay_alu instid0(VALU_DEP_1) | instskip(NEXT) | instid1(VALU_DEP_1)
	v_add_co_u32 v4, s30, s10, v0
	v_add_co_ci_u32_e64 v5, null, s11, 0, s30
	ds_load_b128 v[0:3], v150 offset:8000
	global_load_b128 v[8:11], v[4:5], off offset:320
	s_wait_loadcnt_dscnt 0x0
	v_mul_f64_e32 v[6:7], v[2:3], v[10:11]
	scratch_store_b128 off, v[8:11], off offset:1128 ; 16-byte Folded Spill
	v_fma_f64 v[48:49], v[0:1], v[8:9], -v[6:7]
	v_mul_f64_e32 v[0:1], v[0:1], v[10:11]
	s_delay_alu instid0(VALU_DEP_1)
	v_fma_f64 v[50:51], v[2:3], v[8:9], v[0:1]
	global_load_b128 v[8:11], v[4:5], off offset:336
	ds_load_b128 v[0:3], v150 offset:12800
	s_wait_loadcnt_dscnt 0x0
	v_mul_f64_e32 v[6:7], v[2:3], v[10:11]
	scratch_store_b128 off, v[8:11], off offset:1144 ; 16-byte Folded Spill
	v_fma_f64 v[64:65], v[0:1], v[8:9], -v[6:7]
	v_mul_f64_e32 v[0:1], v[0:1], v[10:11]
	s_delay_alu instid0(VALU_DEP_1)
	v_fma_f64 v[66:67], v[2:3], v[8:9], v[0:1]
	global_load_b128 v[8:11], v[4:5], off offset:352
	ds_load_b128 v[0:3], v150 offset:17600
	;; [unrolled: 9-line block ×3, first 2 shown]
	v_add_f64_e32 v[14:15], v[50:51], v[68:69]
	s_wait_loadcnt_dscnt 0x0
	v_mul_f64_e32 v[6:7], v[2:3], v[10:11]
	scratch_store_b128 off, v[8:11], off offset:1176 ; 16-byte Folded Spill
	v_fma_f64 v[76:77], v[0:1], v[8:9], -v[6:7]
	v_mul_f64_e32 v[0:1], v[0:1], v[10:11]
	s_delay_alu instid0(VALU_DEP_1)
	v_fma_f64 v[78:79], v[2:3], v[8:9], v[0:1]
	global_load_b128 v[8:11], v[4:5], off offset:384
	ds_load_b128 v[0:3], v150 offset:27200
	s_wait_loadcnt_dscnt 0x0
	v_mul_f64_e32 v[6:7], v[2:3], v[10:11]
	scratch_store_b128 off, v[8:11], off offset:1192 ; 16-byte Folded Spill
	v_fma_f64 v[102:103], v[0:1], v[8:9], -v[6:7]
	v_mul_f64_e32 v[0:1], v[0:1], v[10:11]
	s_delay_alu instid0(VALU_DEP_1)
	v_fma_f64 v[100:101], v[2:3], v[8:9], v[0:1]
	global_load_b128 v[8:11], v[4:5], off offset:400
	ds_load_b128 v[0:3], v150 offset:32000
	v_add_f64_e32 v[14:15], v[14:15], v[100:101]
	s_wait_loadcnt_dscnt 0x0
	v_mul_f64_e32 v[6:7], v[2:3], v[10:11]
	scratch_store_b128 off, v[8:11], off offset:1212 ; 16-byte Folded Spill
	v_fma_f64 v[108:109], v[0:1], v[8:9], -v[6:7]
	v_mul_f64_e32 v[0:1], v[0:1], v[10:11]
	s_delay_alu instid0(VALU_DEP_2) | instskip(NEXT) | instid1(VALU_DEP_2)
	v_add_f64_e32 v[12:13], v[76:77], v[108:109]
	v_fma_f64 v[110:111], v[2:3], v[8:9], v[0:1]
	global_load_b128 v[8:11], v[4:5], off offset:416
	ds_load_b128 v[0:3], v150 offset:36800
	s_wait_loadcnt_dscnt 0x0
	v_mul_f64_e32 v[6:7], v[2:3], v[10:11]
	scratch_store_b128 off, v[8:11], off offset:1228 ; 16-byte Folded Spill
	v_fma_f64 v[114:115], v[0:1], v[8:9], -v[6:7]
	v_mul_f64_e32 v[0:1], v[0:1], v[10:11]
	s_delay_alu instid0(VALU_DEP_1)
	v_fma_f64 v[112:113], v[2:3], v[8:9], v[0:1]
	global_load_b128 v[8:11], v[4:5], off offset:432
	ds_load_b128 v[0:3], v150 offset:41600
	v_add_f64_e32 v[14:15], v[14:15], v[112:113]
	s_wait_loadcnt_dscnt 0x0
	v_mul_f64_e32 v[6:7], v[2:3], v[10:11]
	scratch_store_b128 off, v[8:11], off offset:1244 ; 16-byte Folded Spill
	v_fma_f64 v[116:117], v[0:1], v[8:9], -v[6:7]
	v_mul_f64_e32 v[0:1], v[0:1], v[10:11]
	s_delay_alu instid0(VALU_DEP_1)
	v_fma_f64 v[118:119], v[2:3], v[8:9], v[0:1]
	global_load_b128 v[6:9], v[4:5], off offset:448
	ds_load_b128 v[0:3], v150 offset:46400
	s_wait_loadcnt_dscnt 0x0
	v_mul_f64_e32 v[4:5], v[2:3], v[8:9]
	scratch_store_b128 off, v[6:9], off offset:1260 ; 16-byte Folded Spill
	v_fma_f64 v[122:123], v[0:1], v[6:7], -v[4:5]
	v_mul_f64_e32 v[0:1], v[0:1], v[8:9]
	v_add_f64_e32 v[4:5], v[28:29], v[52:53]
	s_delay_alu instid0(VALU_DEP_2)
	v_fma_f64 v[120:121], v[2:3], v[6:7], v[0:1]
	ds_load_b128 v[0:3], v150
	v_add_f64_e32 v[6:7], v[18:19], v[24:25]
	s_wait_dscnt 0x0
	v_fma_f64 v[124:125], v[4:5], -0.5, v[0:1]
	v_add_f64_e32 v[4:5], v[20:21], v[72:73]
	v_add_f64_e32 v[14:15], v[14:15], v[120:121]
	s_delay_alu instid0(VALU_DEP_4) | instskip(NEXT) | instid1(VALU_DEP_3)
	v_add_f64_e32 v[6:7], v[6:7], v[44:45]
	v_fma_f64 v[128:129], v[4:5], -0.5, v[0:1]
	v_add_f64_e32 v[4:5], v[30:31], v[54:55]
	v_add_f64_e32 v[0:1], v[0:1], v[20:21]
	v_add_f64_e64 v[20:21], v[28:29], -v[20:21]
	v_add_f64_e32 v[6:7], v[6:7], v[56:57]
	s_delay_alu instid0(VALU_DEP_4) | instskip(SKIP_4) | instid1(VALU_DEP_4)
	v_fma_f64 v[126:127], v[4:5], -0.5, v[2:3]
	v_add_f64_e32 v[4:5], v[22:23], v[74:75]
	v_add_f64_e32 v[0:1], v[0:1], v[28:29]
	v_add_f64_e64 v[28:29], v[52:53], -v[72:73]
	v_add_f64_e32 v[6:7], v[6:7], v[92:93]
	v_fma_f64 v[130:131], v[4:5], -0.5, v[2:3]
	v_add_f64_e32 v[4:5], v[16:17], v[26:27]
	v_add_f64_e32 v[2:3], v[2:3], v[22:23]
	;; [unrolled: 1-line block ×4, first 2 shown]
	s_delay_alu instid0(VALU_DEP_4) | instskip(NEXT) | instid1(VALU_DEP_4)
	v_add_f64_e32 v[4:5], v[4:5], v[46:47]
	v_add_f64_e32 v[2:3], v[2:3], v[30:31]
	s_delay_alu instid0(VALU_DEP_4) | instskip(NEXT) | instid1(VALU_DEP_3)
	v_add_f64_e32 v[0:1], v[0:1], v[72:73]
	v_add_f64_e32 v[4:5], v[4:5], v[58:59]
	s_delay_alu instid0(VALU_DEP_3) | instskip(NEXT) | instid1(VALU_DEP_2)
	v_add_f64_e32 v[2:3], v[2:3], v[54:55]
	v_add_f64_e32 v[4:5], v[4:5], v[94:95]
	s_delay_alu instid0(VALU_DEP_2) | instskip(NEXT) | instid1(VALU_DEP_2)
	v_add_f64_e32 v[2:3], v[2:3], v[74:75]
	v_add_f64_e32 v[157:158], v[0:1], v[4:5]
	v_add_f64_e64 v[161:162], v[0:1], -v[4:5]
	v_add_f64_e32 v[4:5], v[60:61], v[84:85]
	s_delay_alu instid0(VALU_DEP_4)
	v_add_f64_e32 v[159:160], v[2:3], v[6:7]
	v_add_f64_e64 v[163:164], v[2:3], -v[6:7]
	ds_load_b128 v[0:3], v150 offset:1600
	v_add_f64_e32 v[6:7], v[34:35], v[40:41]
	s_wait_dscnt 0x0
	v_fma_f64 v[132:133], v[4:5], -0.5, v[0:1]
	v_add_f64_e32 v[4:5], v[36:37], v[96:97]
	s_delay_alu instid0(VALU_DEP_3) | instskip(NEXT) | instid1(VALU_DEP_2)
	v_add_f64_e32 v[6:7], v[6:7], v[80:81]
	v_fma_f64 v[136:137], v[4:5], -0.5, v[0:1]
	v_add_f64_e32 v[4:5], v[62:63], v[86:87]
	v_add_f64_e32 v[0:1], v[0:1], v[36:37]
	s_delay_alu instid0(VALU_DEP_4) | instskip(NEXT) | instid1(VALU_DEP_3)
	v_add_f64_e32 v[6:7], v[6:7], v[88:89]
	v_fma_f64 v[134:135], v[4:5], -0.5, v[2:3]
	v_add_f64_e32 v[4:5], v[38:39], v[98:99]
	s_delay_alu instid0(VALU_DEP_4) | instskip(NEXT) | instid1(VALU_DEP_4)
	v_add_f64_e32 v[0:1], v[0:1], v[60:61]
	v_add_f64_e32 v[6:7], v[6:7], v[104:105]
	s_delay_alu instid0(VALU_DEP_3) | instskip(SKIP_3) | instid1(VALU_DEP_3)
	v_fma_f64 v[138:139], v[4:5], -0.5, v[2:3]
	v_add_f64_e32 v[2:3], v[2:3], v[38:39]
	v_add_f64_e32 v[4:5], v[32:33], v[42:43]
	;; [unrolled: 1-line block ×4, first 2 shown]
	s_delay_alu instid0(VALU_DEP_3) | instskip(NEXT) | instid1(VALU_DEP_3)
	v_add_f64_e32 v[4:5], v[4:5], v[82:83]
	v_add_f64_e32 v[8:9], v[0:1], v[96:97]
	s_delay_alu instid0(VALU_DEP_3) | instskip(NEXT) | instid1(VALU_DEP_3)
	v_add_f64_e32 v[2:3], v[2:3], v[86:87]
	v_add_f64_e32 v[4:5], v[4:5], v[90:91]
	s_delay_alu instid0(VALU_DEP_2) | instskip(NEXT) | instid1(VALU_DEP_2)
	v_add_f64_e32 v[10:11], v[2:3], v[98:99]
	v_add_f64_e32 v[4:5], v[4:5], v[106:107]
	s_delay_alu instid0(VALU_DEP_2) | instskip(NEXT) | instid1(VALU_DEP_2)
	v_add_f64_e32 v[2:3], v[10:11], v[6:7]
	v_add_f64_e32 v[0:1], v[8:9], v[4:5]
	v_add_f64_e64 v[4:5], v[8:9], -v[4:5]
	v_add_f64_e64 v[6:7], v[10:11], -v[6:7]
	ds_load_b128 v[8:11], v150 offset:3200
	global_wb scope:SCOPE_SE
	s_wait_storecnt_dscnt 0x0
	s_barrier_signal -1
	s_barrier_wait -1
	global_inv scope:SCOPE_SE
	ds_store_b128 v184, v[157:160]
	ds_store_b128 v184, v[161:164] offset:2400
	v_add_f64_e64 v[156:157], v[72:73], -v[52:53]
	v_add_f64_e64 v[158:159], v[74:75], -v[54:55]
	;; [unrolled: 1-line block ×3, first 2 shown]
	v_fma_f64 v[140:141], v[12:13], -0.5, v[8:9]
	v_add_f64_e32 v[12:13], v[64:65], v[116:117]
	v_add_f64_e32 v[148:149], v[148:149], v[156:157]
	v_add_f64_e64 v[156:157], v[22:23], -v[30:31]
	v_add_f64_e64 v[22:23], v[30:31], -v[22:23]
	;; [unrolled: 1-line block ×4, first 2 shown]
	v_fma_f64 v[144:145], v[12:13], -0.5, v[8:9]
	v_add_f64_e32 v[12:13], v[78:79], v[110:111]
	v_add_f64_e32 v[8:9], v[8:9], v[64:65]
	;; [unrolled: 1-line block ×3, first 2 shown]
	s_delay_alu instid0(VALU_DEP_3) | instskip(SKIP_1) | instid1(VALU_DEP_4)
	v_fma_f64 v[142:143], v[12:13], -0.5, v[10:11]
	v_add_f64_e32 v[12:13], v[66:67], v[118:119]
	v_add_f64_e32 v[8:9], v[8:9], v[76:77]
	s_delay_alu instid0(VALU_DEP_2) | instskip(SKIP_2) | instid1(VALU_DEP_4)
	v_fma_f64 v[146:147], v[12:13], -0.5, v[10:11]
	v_add_f64_e32 v[12:13], v[48:49], v[70:71]
	v_add_f64_e32 v[10:11], v[10:11], v[66:67]
	;; [unrolled: 1-line block ×3, first 2 shown]
	s_delay_alu instid0(VALU_DEP_3) | instskip(NEXT) | instid1(VALU_DEP_3)
	v_add_f64_e32 v[12:13], v[12:13], v[102:103]
	v_add_f64_e32 v[10:11], v[10:11], v[78:79]
	s_delay_alu instid0(VALU_DEP_3) | instskip(NEXT) | instid1(VALU_DEP_3)
	v_add_f64_e32 v[165:166], v[8:9], v[116:117]
	v_add_f64_e32 v[12:13], v[12:13], v[114:115]
	s_delay_alu instid0(VALU_DEP_3) | instskip(NEXT) | instid1(VALU_DEP_2)
	v_add_f64_e32 v[10:11], v[10:11], v[110:111]
	v_add_f64_e32 v[12:13], v[12:13], v[122:123]
	s_delay_alu instid0(VALU_DEP_2) | instskip(NEXT) | instid1(VALU_DEP_2)
	v_add_f64_e32 v[167:168], v[10:11], v[118:119]
	v_add_f64_e32 v[8:9], v[165:166], v[12:13]
	v_add_f64_e64 v[12:13], v[165:166], -v[12:13]
	v_add_f64_e32 v[164:165], v[156:157], v[158:159]
	v_add_f64_e64 v[156:157], v[26:27], -v[46:47]
	v_add_f64_e64 v[158:159], v[94:95], -v[58:59]
	v_add_f64_e32 v[10:11], v[167:168], v[14:15]
	v_add_f64_e64 v[14:15], v[167:168], -v[14:15]
	s_delay_alu instid0(VALU_DEP_3) | instskip(SKIP_2) | instid1(VALU_DEP_1)
	v_add_f64_e32 v[166:167], v[156:157], v[158:159]
	v_add_f64_e64 v[156:157], v[24:25], -v[44:45]
	v_add_f64_e64 v[158:159], v[92:93], -v[56:57]
	v_add_f64_e32 v[168:169], v[156:157], v[158:159]
	v_add_f64_e32 v[156:157], v[46:47], v[58:59]
	v_add_f64_e64 v[46:47], v[46:47], -v[26:27]
	v_add_f64_e32 v[26:27], v[26:27], v[94:95]
	s_delay_alu instid0(VALU_DEP_3)
	v_fma_f64 v[170:171], v[156:157], -0.5, v[16:17]
	v_add_f64_e32 v[156:157], v[44:45], v[56:57]
	v_add_f64_e64 v[44:45], v[44:45], -v[24:25]
	v_add_f64_e32 v[24:25], v[24:25], v[92:93]
	v_fma_f64 v[26:27], v[26:27], -0.5, v[16:17]
	v_add_f64_e32 v[46:47], v[46:47], v[52:53]
	v_fma_f64 v[158:159], v[178:179], s[16:17], v[170:171]
	v_fma_f64 v[172:173], v[156:157], -0.5, v[18:19]
	v_add_f64_e32 v[44:45], v[44:45], v[54:55]
	v_fma_f64 v[24:25], v[24:25], -0.5, v[18:19]
	v_fma_f64 v[18:19], v[180:181], s[18:19], v[26:27]
	v_fma_f64 v[26:27], v[180:181], s[16:17], v[26:27]
	;; [unrolled: 1-line block ×16, first 2 shown]
	s_delay_alu instid0(VALU_DEP_3) | instskip(SKIP_1) | instid1(VALU_DEP_4)
	v_fma_f64 v[24:25], v[44:45], s[14:15], v[24:25]
	v_mul_f64_e32 v[44:45], s[24:25], v[26:27]
	v_mul_f64_e32 v[160:161], s[2:3], v[156:157]
	s_delay_alu instid0(VALU_DEP_4) | instskip(NEXT) | instid1(VALU_DEP_3)
	v_mul_f64_e32 v[20:21], s[16:17], v[16:17]
	v_fma_f64 v[44:45], v[24:25], s[16:17], v[44:45]
	v_mul_f64_e32 v[24:25], s[24:25], v[24:25]
	s_delay_alu instid0(VALU_DEP_4) | instskip(SKIP_4) | instid1(VALU_DEP_4)
	v_fma_f64 v[160:161], v[158:159], s[20:21], v[160:161]
	v_mul_f64_e32 v[158:159], s[12:13], v[158:159]
	v_fma_f64 v[20:21], v[18:19], s[14:15], v[20:21]
	v_mul_f64_e32 v[18:19], s[18:19], v[18:19]
	v_fma_f64 v[46:47], v[26:27], s[18:19], v[24:25]
	v_fma_f64 v[162:163], v[156:157], s[20:21], v[158:159]
	;; [unrolled: 1-line block ×3, first 2 shown]
	s_delay_alu instid0(VALU_DEP_4) | instskip(SKIP_4) | instid1(VALU_DEP_4)
	v_fma_f64 v[22:23], v[16:17], s[14:15], v[18:19]
	v_fma_f64 v[16:17], v[185:186], s[18:19], v[128:129]
	;; [unrolled: 1-line block ×6, first 2 shown]
	s_delay_alu instid0(VALU_DEP_4) | instskip(NEXT) | instid1(VALU_DEP_4)
	v_fma_f64 v[18:19], v[187:188], s[12:13], v[18:19]
	v_fma_f64 v[158:159], v[189:190], s[12:13], v[158:159]
	s_delay_alu instid0(VALU_DEP_4) | instskip(NEXT) | instid1(VALU_DEP_4)
	v_fma_f64 v[191:192], v[148:149], s[14:15], v[156:157]
	v_fma_f64 v[52:53], v[28:29], s[14:15], v[16:17]
	;; [unrolled: 3-line block ×3, first 2 shown]
	s_delay_alu instid0(VALU_DEP_4)
	v_add_f64_e32 v[156:157], v[191:192], v[160:161]
	v_add_f64_e64 v[160:161], v[191:192], -v[160:161]
	v_add_f64_e32 v[16:17], v[52:53], v[20:21]
	v_add_f64_e64 v[20:21], v[52:53], -v[20:21]
	v_fma_f64 v[52:53], v[185:186], s[16:17], v[128:129]
	v_add_f64_e32 v[18:19], v[54:55], v[22:23]
	v_add_f64_e64 v[22:23], v[54:55], -v[22:23]
	v_fma_f64 v[54:55], v[174:175], s[16:17], v[172:173]
	v_add_f64_e64 v[172:173], v[62:63], -v[86:87]
	v_add_f64_e64 v[174:175], v[36:37], -v[96:97]
	v_add_f64_e32 v[158:159], v[193:194], v[162:163]
	v_add_f64_e64 v[162:163], v[193:194], -v[162:163]
	v_fma_f64 v[52:53], v[182:183], s[12:13], v[52:53]
	v_fma_f64 v[54:55], v[176:177], s[2:3], v[54:55]
	v_add_f64_e64 v[176:177], v[60:61], -v[84:85]
	s_delay_alu instid0(VALU_DEP_3) | instskip(SKIP_1) | instid1(VALU_DEP_2)
	v_fma_f64 v[28:29], v[28:29], s[14:15], v[52:53]
	v_fma_f64 v[52:53], v[189:190], s[18:19], v[130:131]
	v_add_f64_e32 v[24:25], v[28:29], v[44:45]
	s_delay_alu instid0(VALU_DEP_2) | instskip(SKIP_3) | instid1(VALU_DEP_4)
	v_fma_f64 v[52:53], v[187:188], s[2:3], v[52:53]
	v_add_f64_e64 v[28:29], v[28:29], -v[44:45]
	v_fma_f64 v[44:45], v[178:179], s[18:19], v[170:171]
	v_add_f64_e64 v[170:171], v[38:39], -v[98:99]
	v_fma_f64 v[30:31], v[30:31], s[14:15], v[52:53]
	v_fma_f64 v[52:53], v[187:188], s[16:17], v[126:127]
	s_delay_alu instid0(VALU_DEP_4) | instskip(NEXT) | instid1(VALU_DEP_3)
	v_fma_f64 v[44:45], v[180:181], s[12:13], v[44:45]
	v_add_f64_e32 v[26:27], v[30:31], v[46:47]
	v_add_f64_e64 v[30:31], v[30:31], -v[46:47]
	v_fma_f64 v[46:47], v[182:183], s[18:19], v[124:125]
	v_fma_f64 v[52:53], v[189:190], s[2:3], v[52:53]
	;; [unrolled: 1-line block ×3, first 2 shown]
	v_add_f64_e64 v[166:167], v[40:41], -v[104:105]
	s_delay_alu instid0(VALU_DEP_4) | instskip(NEXT) | instid1(VALU_DEP_4)
	v_fma_f64 v[46:47], v[185:186], s[12:13], v[46:47]
	v_fma_f64 v[58:59], v[164:165], s[14:15], v[52:53]
	s_delay_alu instid0(VALU_DEP_4) | instskip(SKIP_1) | instid1(VALU_DEP_4)
	v_mul_f64_e32 v[52:53], s[22:23], v[44:45]
	v_add_f64_e64 v[164:165], v[82:83], -v[90:91]
	v_fma_f64 v[56:57], v[148:149], s[14:15], v[46:47]
	v_fma_f64 v[46:47], v[168:169], s[14:15], v[54:55]
	v_add_f64_e64 v[168:169], v[80:81], -v[88:89]
	v_add_f64_e64 v[148:149], v[42:43], -v[106:107]
	s_delay_alu instid0(VALU_DEP_3) | instskip(SKIP_1) | instid1(VALU_DEP_1)
	v_fma_f64 v[52:53], v[46:47], s[2:3], v[52:53]
	v_mul_f64_e32 v[46:47], s[22:23], v[46:47]
	v_fma_f64 v[54:55], v[44:45], s[12:13], v[46:47]
	s_delay_alu instid0(VALU_DEP_3)
	v_add_f64_e32 v[44:45], v[56:57], v[52:53]
	v_add_f64_e64 v[52:53], v[56:57], -v[52:53]
	v_add_f64_e64 v[56:57], v[36:37], -v[60:61]
	;; [unrolled: 1-line block ×4, first 2 shown]
	v_add_f64_e32 v[46:47], v[58:59], v[54:55]
	v_add_f64_e64 v[54:55], v[58:59], -v[54:55]
	v_add_f64_e64 v[58:59], v[96:97], -v[84:85]
	;; [unrolled: 1-line block ×3, first 2 shown]
	ds_store_b128 v184, v[156:159] offset:480
	ds_store_b128 v184, v[16:19] offset:960
	;; [unrolled: 1-line block ×8, first 2 shown]
	v_add_f64_e32 v[60:61], v[36:37], v[60:61]
	v_and_b32_e32 v16, 0xffff, v152
	v_mad_co_u64_u32 v[20:21], null, 0x90, v255, s[10:11]
	v_add_f64_e32 v[92:93], v[56:57], v[58:59]
	v_add_f64_e64 v[56:57], v[38:39], -v[62:63]
	v_add_f64_e64 v[58:59], v[98:99], -v[86:87]
	;; [unrolled: 1-line block ×5, first 2 shown]
	v_mul_u32_u24_e32 v16, 0x12c, v16
	s_delay_alu instid0(VALU_DEP_1) | instskip(SKIP_4) | instid1(VALU_DEP_2)
	v_add_lshl_u32 v151, v16, v153, 4
	v_add_f64_e32 v[94:95], v[56:57], v[58:59]
	v_add_f64_e64 v[56:57], v[42:43], -v[82:83]
	v_add_f64_e64 v[58:59], v[106:107], -v[90:91]
	v_add_f64_e32 v[62:63], v[38:39], v[62:63]
	v_add_f64_e32 v[124:125], v[56:57], v[58:59]
	v_add_f64_e64 v[56:57], v[40:41], -v[80:81]
	v_add_f64_e64 v[58:59], v[104:105], -v[88:89]
	s_delay_alu instid0(VALU_DEP_1) | instskip(SKIP_3) | instid1(VALU_DEP_3)
	v_add_f64_e32 v[126:127], v[56:57], v[58:59]
	v_add_f64_e32 v[56:57], v[82:83], v[90:91]
	v_add_f64_e64 v[82:83], v[82:83], -v[42:43]
	v_add_f64_e32 v[42:43], v[42:43], v[106:107]
	v_fma_f64 v[128:129], v[56:57], -0.5, v[32:33]
	v_add_f64_e32 v[56:57], v[80:81], v[88:89]
	v_add_f64_e64 v[80:81], v[80:81], -v[40:41]
	v_add_f64_e32 v[40:41], v[40:41], v[104:105]
	v_fma_f64 v[42:43], v[42:43], -0.5, v[32:33]
	v_add_f64_e32 v[82:83], v[82:83], v[84:85]
	v_fma_f64 v[58:59], v[166:167], s[16:17], v[128:129]
	v_fma_f64 v[130:131], v[56:57], -0.5, v[34:35]
	v_add_f64_e32 v[80:81], v[80:81], v[86:87]
	v_fma_f64 v[40:41], v[40:41], -0.5, v[34:35]
	v_fma_f64 v[34:35], v[168:169], s[18:19], v[42:43]
	v_fma_f64 v[42:43], v[168:169], s[16:17], v[42:43]
	;; [unrolled: 1-line block ×16, first 2 shown]
	s_delay_alu instid0(VALU_DEP_3) | instskip(SKIP_1) | instid1(VALU_DEP_4)
	v_fma_f64 v[40:41], v[80:81], s[14:15], v[40:41]
	v_mul_f64_e32 v[80:81], s[24:25], v[42:43]
	v_mul_f64_e32 v[72:73], s[2:3], v[56:57]
	s_delay_alu instid0(VALU_DEP_4) | instskip(NEXT) | instid1(VALU_DEP_3)
	v_mul_f64_e32 v[36:37], s[16:17], v[32:33]
	v_fma_f64 v[80:81], v[40:41], s[16:17], v[80:81]
	v_mul_f64_e32 v[40:41], s[24:25], v[40:41]
	s_delay_alu instid0(VALU_DEP_4) | instskip(SKIP_4) | instid1(VALU_DEP_4)
	v_fma_f64 v[72:73], v[58:59], s[20:21], v[72:73]
	v_mul_f64_e32 v[58:59], s[12:13], v[58:59]
	v_fma_f64 v[36:37], v[34:35], s[14:15], v[36:37]
	v_mul_f64_e32 v[34:35], s[18:19], v[34:35]
	v_fma_f64 v[82:83], v[42:43], s[18:19], v[40:41]
	v_fma_f64 v[74:75], v[56:57], s[20:21], v[58:59]
	;; [unrolled: 1-line block ×3, first 2 shown]
	s_delay_alu instid0(VALU_DEP_4) | instskip(SKIP_4) | instid1(VALU_DEP_4)
	v_fma_f64 v[38:39], v[32:33], s[14:15], v[34:35]
	v_fma_f64 v[32:33], v[172:173], s[18:19], v[136:137]
	;; [unrolled: 1-line block ×6, first 2 shown]
	s_delay_alu instid0(VALU_DEP_4) | instskip(NEXT) | instid1(VALU_DEP_4)
	v_fma_f64 v[34:35], v[174:175], s[12:13], v[34:35]
	v_fma_f64 v[58:59], v[176:177], s[12:13], v[58:59]
	s_delay_alu instid0(VALU_DEP_4) | instskip(NEXT) | instid1(VALU_DEP_4)
	v_fma_f64 v[178:179], v[92:93], s[14:15], v[56:57]
	v_fma_f64 v[84:85], v[60:61], s[14:15], v[32:33]
	;; [unrolled: 3-line block ×3, first 2 shown]
	s_delay_alu instid0(VALU_DEP_4)
	v_add_f64_e32 v[56:57], v[178:179], v[72:73]
	v_add_f64_e64 v[72:73], v[178:179], -v[72:73]
	v_add_f64_e32 v[32:33], v[84:85], v[36:37]
	v_add_f64_e64 v[36:37], v[84:85], -v[36:37]
	v_fma_f64 v[84:85], v[172:173], s[16:17], v[136:137]
	v_add_f64_e32 v[34:35], v[86:87], v[38:39]
	v_add_f64_e64 v[38:39], v[86:87], -v[38:39]
	v_fma_f64 v[86:87], v[148:149], s[16:17], v[130:131]
	v_add_f64_e64 v[130:131], v[102:103], -v[114:115]
	v_add_f64_e64 v[136:137], v[66:67], -v[118:119]
	;; [unrolled: 1-line block ×3, first 2 shown]
	v_add_f64_e32 v[58:59], v[180:181], v[74:75]
	v_add_f64_e64 v[74:75], v[180:181], -v[74:75]
	v_fma_f64 v[84:85], v[170:171], s[12:13], v[84:85]
	v_fma_f64 v[86:87], v[164:165], s[2:3], v[86:87]
	v_add_f64_e64 v[164:165], v[76:77], -v[108:109]
	s_delay_alu instid0(VALU_DEP_3) | instskip(SKIP_2) | instid1(VALU_DEP_3)
	v_fma_f64 v[60:61], v[60:61], s[14:15], v[84:85]
	v_fma_f64 v[84:85], v[176:177], s[18:19], v[138:139]
	v_add_f64_e64 v[138:139], v[78:79], -v[110:111]
	v_add_f64_e32 v[40:41], v[60:61], v[80:81]
	s_delay_alu instid0(VALU_DEP_3) | instskip(SKIP_3) | instid1(VALU_DEP_4)
	v_fma_f64 v[84:85], v[174:175], s[2:3], v[84:85]
	v_add_f64_e64 v[60:61], v[60:61], -v[80:81]
	v_fma_f64 v[80:81], v[166:167], s[18:19], v[128:129]
	v_add_f64_e64 v[128:129], v[70:71], -v[122:123]
	v_fma_f64 v[62:63], v[62:63], s[14:15], v[84:85]
	v_fma_f64 v[84:85], v[174:175], s[16:17], v[134:135]
	s_delay_alu instid0(VALU_DEP_4) | instskip(SKIP_1) | instid1(VALU_DEP_4)
	v_fma_f64 v[80:81], v[168:169], s[12:13], v[80:81]
	v_add_f64_e64 v[134:135], v[100:101], -v[112:113]
	v_add_f64_e32 v[42:43], v[62:63], v[82:83]
	v_add_f64_e64 v[62:63], v[62:63], -v[82:83]
	v_fma_f64 v[82:83], v[170:171], s[18:19], v[132:133]
	v_fma_f64 v[84:85], v[176:177], s[2:3], v[84:85]
	;; [unrolled: 1-line block ×3, first 2 shown]
	v_add_f64_e64 v[132:133], v[68:69], -v[120:121]
	s_delay_alu instid0(VALU_DEP_4) | instskip(NEXT) | instid1(VALU_DEP_4)
	v_fma_f64 v[82:83], v[172:173], s[12:13], v[82:83]
	v_fma_f64 v[90:91], v[94:95], s[14:15], v[84:85]
	s_delay_alu instid0(VALU_DEP_4) | instskip(NEXT) | instid1(VALU_DEP_3)
	v_mul_f64_e32 v[84:85], s[22:23], v[80:81]
	v_fma_f64 v[88:89], v[92:93], s[14:15], v[82:83]
	v_fma_f64 v[82:83], v[126:127], s[14:15], v[86:87]
	s_delay_alu instid0(VALU_DEP_1) | instskip(SKIP_1) | instid1(VALU_DEP_1)
	v_fma_f64 v[84:85], v[82:83], s[2:3], v[84:85]
	v_mul_f64_e32 v[82:83], s[22:23], v[82:83]
	v_fma_f64 v[86:87], v[80:81], s[12:13], v[82:83]
	s_delay_alu instid0(VALU_DEP_3)
	v_add_f64_e32 v[80:81], v[88:89], v[84:85]
	v_add_f64_e64 v[84:85], v[88:89], -v[84:85]
	v_add_f64_e64 v[88:89], v[64:65], -v[76:77]
	;; [unrolled: 1-line block ×4, first 2 shown]
	v_add_f64_e32 v[82:83], v[90:91], v[86:87]
	v_add_f64_e64 v[86:87], v[90:91], -v[86:87]
	v_add_f64_e64 v[90:91], v[116:117], -v[108:109]
	;; [unrolled: 1-line block ×3, first 2 shown]
	ds_store_b128 v151, v[0:3]
	ds_store_b128 v151, v[56:59] offset:480
	ds_store_b128 v151, v[32:35] offset:960
	;; [unrolled: 1-line block ×9, first 2 shown]
	v_add_f64_e32 v[76:77], v[64:65], v[76:77]
	v_mad_u16 v0, 0x12c, v154, v155
	v_add_f64_e32 v[96:97], v[88:89], v[90:91]
	v_add_f64_e64 v[88:89], v[66:67], -v[78:79]
	v_add_f64_e64 v[90:91], v[118:119], -v[110:111]
	v_add_f64_e64 v[66:67], v[78:79], -v[66:67]
	v_add_f64_e64 v[78:79], v[110:111], -v[118:119]
	v_add_f64_e64 v[110:111], v[112:113], -v[120:121]
	v_and_b32_e32 v0, 0xffff, v0
	s_delay_alu instid0(VALU_DEP_1) | instskip(SKIP_4) | instid1(VALU_DEP_2)
	v_lshlrev_b32_e32 v189, 4, v0
	v_add_f64_e32 v[98:99], v[88:89], v[90:91]
	v_add_f64_e64 v[88:89], v[70:71], -v[102:103]
	v_add_f64_e64 v[90:91], v[122:123], -v[114:115]
	v_add_f64_e32 v[78:79], v[66:67], v[78:79]
	v_add_f64_e32 v[104:105], v[88:89], v[90:91]
	v_add_f64_e64 v[88:89], v[68:69], -v[100:101]
	v_add_f64_e64 v[90:91], v[120:121], -v[112:113]
	s_delay_alu instid0(VALU_DEP_1) | instskip(SKIP_3) | instid1(VALU_DEP_3)
	v_add_f64_e32 v[106:107], v[88:89], v[90:91]
	v_add_f64_e32 v[88:89], v[102:103], v[114:115]
	v_add_f64_e64 v[102:103], v[102:103], -v[70:71]
	v_add_f64_e32 v[70:71], v[70:71], v[122:123]
	v_fma_f64 v[124:125], v[88:89], -0.5, v[48:49]
	v_add_f64_e32 v[88:89], v[100:101], v[112:113]
	v_add_f64_e64 v[100:101], v[100:101], -v[68:69]
	v_add_f64_e32 v[68:69], v[68:69], v[120:121]
	v_fma_f64 v[70:71], v[70:71], -0.5, v[48:49]
	v_add_f64_e32 v[102:103], v[102:103], v[108:109]
	v_fma_f64 v[90:91], v[132:133], s[16:17], v[124:125]
	v_fma_f64 v[126:127], v[88:89], -0.5, v[50:51]
	v_add_f64_e32 v[100:101], v[100:101], v[110:111]
	v_fma_f64 v[68:69], v[68:69], -0.5, v[50:51]
	v_fma_f64 v[50:51], v[134:135], s[18:19], v[70:71]
	v_fma_f64 v[70:71], v[134:135], s[16:17], v[70:71]
	v_fma_f64 v[90:91], v[134:135], s[2:3], v[90:91]
	v_fma_f64 v[88:89], v[128:129], s[18:19], v[126:127]
	v_fma_f64 v[48:49], v[130:131], s[16:17], v[68:69]
	v_fma_f64 v[50:51], v[132:133], s[2:3], v[50:51]
	v_fma_f64 v[70:71], v[132:133], s[12:13], v[70:71]
	v_fma_f64 v[68:69], v[130:131], s[18:19], v[68:69]
	v_fma_f64 v[90:91], v[104:105], s[14:15], v[90:91]
	v_fma_f64 v[88:89], v[130:131], s[12:13], v[88:89]
	v_fma_f64 v[48:49], v[128:129], s[12:13], v[48:49]
	v_fma_f64 v[50:51], v[102:103], s[14:15], v[50:51]
	v_fma_f64 v[70:71], v[102:103], s[14:15], v[70:71]
	v_fma_f64 v[68:69], v[128:129], s[2:3], v[68:69]
	v_fma_f64 v[88:89], v[106:107], s[14:15], v[88:89]
	v_fma_f64 v[48:49], v[100:101], s[14:15], v[48:49]
	s_delay_alu instid0(VALU_DEP_3) | instskip(SKIP_1) | instid1(VALU_DEP_4)
	v_fma_f64 v[68:69], v[100:101], s[14:15], v[68:69]
	v_mul_f64_e32 v[100:101], s[24:25], v[70:71]
	v_mul_f64_e32 v[92:93], s[2:3], v[88:89]
	s_delay_alu instid0(VALU_DEP_4) | instskip(NEXT) | instid1(VALU_DEP_3)
	v_mul_f64_e32 v[64:65], s[16:17], v[48:49]
	v_fma_f64 v[100:101], v[68:69], s[16:17], v[100:101]
	v_mul_f64_e32 v[68:69], s[24:25], v[68:69]
	s_delay_alu instid0(VALU_DEP_4) | instskip(SKIP_4) | instid1(VALU_DEP_4)
	v_fma_f64 v[92:93], v[90:91], s[20:21], v[92:93]
	v_mul_f64_e32 v[90:91], s[12:13], v[90:91]
	v_fma_f64 v[64:65], v[50:51], s[14:15], v[64:65]
	v_mul_f64_e32 v[50:51], s[18:19], v[50:51]
	v_fma_f64 v[102:103], v[70:71], s[18:19], v[68:69]
	v_fma_f64 v[94:95], v[88:89], s[20:21], v[90:91]
	;; [unrolled: 1-line block ×3, first 2 shown]
	s_delay_alu instid0(VALU_DEP_4) | instskip(SKIP_4) | instid1(VALU_DEP_4)
	v_fma_f64 v[66:67], v[48:49], s[14:15], v[50:51]
	v_fma_f64 v[48:49], v[138:139], s[18:19], v[144:145]
	;; [unrolled: 1-line block ×6, first 2 shown]
	s_delay_alu instid0(VALU_DEP_4) | instskip(NEXT) | instid1(VALU_DEP_4)
	v_fma_f64 v[50:51], v[148:149], s[12:13], v[50:51]
	v_fma_f64 v[90:91], v[164:165], s[12:13], v[90:91]
	s_delay_alu instid0(VALU_DEP_4) | instskip(NEXT) | instid1(VALU_DEP_4)
	v_fma_f64 v[166:167], v[96:97], s[14:15], v[88:89]
	v_fma_f64 v[108:109], v[76:77], s[14:15], v[48:49]
	;; [unrolled: 3-line block ×3, first 2 shown]
	s_delay_alu instid0(VALU_DEP_4)
	v_add_f64_e32 v[88:89], v[166:167], v[92:93]
	v_add_f64_e64 v[92:93], v[166:167], -v[92:93]
	v_add_f64_e32 v[48:49], v[108:109], v[64:65]
	v_add_f64_e64 v[64:65], v[108:109], -v[64:65]
	v_fma_f64 v[108:109], v[138:139], s[16:17], v[144:145]
	v_add_f64_e32 v[50:51], v[110:111], v[66:67]
	v_add_f64_e64 v[66:67], v[110:111], -v[66:67]
	v_fma_f64 v[110:111], v[128:129], s[16:17], v[126:127]
	;; [unrolled: 3-line block ×3, first 2 shown]
	s_delay_alu instid0(VALU_DEP_4) | instskip(NEXT) | instid1(VALU_DEP_2)
	v_fma_f64 v[110:111], v[130:131], s[2:3], v[110:111]
	v_fma_f64 v[76:77], v[76:77], s[14:15], v[108:109]
	v_fma_f64 v[108:109], v[164:165], s[18:19], v[146:147]
	s_delay_alu instid0(VALU_DEP_2) | instskip(NEXT) | instid1(VALU_DEP_2)
	v_add_f64_e32 v[68:69], v[76:77], v[100:101]
	v_fma_f64 v[108:109], v[148:149], s[2:3], v[108:109]
	v_add_f64_e64 v[76:77], v[76:77], -v[100:101]
	v_fma_f64 v[100:101], v[132:133], s[18:19], v[124:125]
	s_delay_alu instid0(VALU_DEP_3) | instskip(SKIP_1) | instid1(VALU_DEP_3)
	v_fma_f64 v[78:79], v[78:79], s[14:15], v[108:109]
	v_fma_f64 v[108:109], v[148:149], s[16:17], v[142:143]
	;; [unrolled: 1-line block ×3, first 2 shown]
	s_delay_alu instid0(VALU_DEP_3) | instskip(SKIP_4) | instid1(VALU_DEP_3)
	v_add_f64_e32 v[70:71], v[78:79], v[102:103]
	v_add_f64_e64 v[78:79], v[78:79], -v[102:103]
	v_fma_f64 v[102:103], v[136:137], s[18:19], v[140:141]
	v_fma_f64 v[108:109], v[164:165], s[2:3], v[108:109]
	v_fma_f64 v[100:101], v[104:105], s[14:15], v[100:101]
	v_fma_f64 v[102:103], v[138:139], s[12:13], v[102:103]
	s_delay_alu instid0(VALU_DEP_3) | instskip(NEXT) | instid1(VALU_DEP_3)
	v_fma_f64 v[104:105], v[98:99], s[14:15], v[108:109]
	v_mul_f64_e32 v[98:99], s[22:23], v[100:101]
	s_delay_alu instid0(VALU_DEP_3) | instskip(SKIP_1) | instid1(VALU_DEP_1)
	v_fma_f64 v[102:103], v[96:97], s[14:15], v[102:103]
	v_fma_f64 v[96:97], v[106:107], s[14:15], v[110:111]
	;; [unrolled: 1-line block ×3, first 2 shown]
	v_mul_f64_e32 v[96:97], s[22:23], v[96:97]
	s_delay_alu instid0(VALU_DEP_1) | instskip(NEXT) | instid1(VALU_DEP_3)
	v_fma_f64 v[108:109], v[100:101], s[12:13], v[96:97]
	v_add_f64_e32 v[96:97], v[102:103], v[106:107]
	v_add_f64_e64 v[100:101], v[102:103], -v[106:107]
	s_delay_alu instid0(VALU_DEP_3)
	v_add_f64_e32 v[98:99], v[104:105], v[108:109]
	v_add_f64_e64 v[102:103], v[104:105], -v[108:109]
	ds_store_b128 v189, v[8:11]
	ds_store_b128 v189, v[88:91] offset:480
	ds_store_b128 v189, v[48:51] offset:960
	;; [unrolled: 1-line block ×9, first 2 shown]
	global_wb scope:SCOPE_SE
	s_wait_dscnt 0x0
	s_barrier_signal -1
	s_barrier_wait -1
	global_inv scope:SCOPE_SE
	s_clause 0x1
	global_load_b128 v[6:9], v[20:21], off offset:4640
	global_load_b128 v[240:243], v[20:21], off offset:19136
	ds_load_b128 v[0:3], v150 offset:4800
	ds_load_b128 v[16:19], v150 offset:41600
	s_clause 0xb
	global_load_b128 v[252:255], v[20:21], off offset:19120
	global_load_b128 v[244:247], v[20:21], off offset:19152
	;; [unrolled: 1-line block ×12, first 2 shown]
	s_wait_loadcnt_dscnt 0xd01
	v_mul_f64_e32 v[4:5], v[2:3], v[8:9]
	scratch_store_b128 off, v[6:9], off offset:1328 ; 16-byte Folded Spill
	v_fma_f64 v[144:145], v[0:1], v[6:7], -v[4:5]
	v_mul_f64_e32 v[0:1], v[0:1], v[8:9]
	s_delay_alu instid0(VALU_DEP_1)
	v_fma_f64 v[142:143], v[2:3], v[6:7], v[0:1]
	global_load_b128 v[6:9], v[20:21], off offset:4656
	ds_load_b128 v[0:3], v150 offset:9600
	s_wait_loadcnt_dscnt 0x0
	v_mul_f64_e32 v[4:5], v[2:3], v[8:9]
	scratch_store_b128 off, v[6:9], off offset:1312 ; 16-byte Folded Spill
	v_fma_f64 v[96:97], v[0:1], v[6:7], -v[4:5]
	v_mul_f64_e32 v[0:1], v[0:1], v[8:9]
	s_delay_alu instid0(VALU_DEP_1)
	v_fma_f64 v[92:93], v[2:3], v[6:7], v[0:1]
	global_load_b128 v[6:9], v[20:21], off offset:4672
	ds_load_b128 v[0:3], v150 offset:14400
	;; [unrolled: 9-line block ×3, first 2 shown]
	v_add_f64_e32 v[22:23], v[142:143], v[70:71]
	s_wait_loadcnt_dscnt 0x0
	v_mul_f64_e32 v[4:5], v[2:3], v[8:9]
	scratch_store_b128 off, v[6:9], off offset:1280 ; 16-byte Folded Spill
	v_fma_f64 v[52:53], v[0:1], v[6:7], -v[4:5]
	v_mul_f64_e32 v[0:1], v[0:1], v[8:9]
	s_delay_alu instid0(VALU_DEP_1)
	v_fma_f64 v[54:55], v[2:3], v[6:7], v[0:1]
	global_load_b128 v[6:9], v[20:21], off offset:4704
	ds_load_b128 v[0:3], v150 offset:24000
	s_wait_loadcnt_dscnt 0x0
	v_mul_f64_e32 v[4:5], v[2:3], v[8:9]
	scratch_store_b128 off, v[6:9], off offset:1344 ; 16-byte Folded Spill
	v_fma_f64 v[64:65], v[0:1], v[6:7], -v[4:5]
	v_mul_f64_e32 v[0:1], v[0:1], v[8:9]
	s_delay_alu instid0(VALU_DEP_1)
	v_fma_f64 v[46:47], v[2:3], v[6:7], v[0:1]
	global_load_b128 v[6:9], v[20:21], off offset:4720
	ds_load_b128 v[0:3], v150 offset:28800
	v_add_f64_e32 v[22:23], v[22:23], v[46:47]
	s_wait_loadcnt_dscnt 0x0
	v_mul_f64_e32 v[4:5], v[2:3], v[8:9]
	scratch_store_b128 off, v[6:9], off offset:1360 ; 16-byte Folded Spill
	v_fma_f64 v[42:43], v[0:1], v[6:7], -v[4:5]
	v_mul_f64_e32 v[0:1], v[0:1], v[8:9]
	s_delay_alu instid0(VALU_DEP_2) | instskip(NEXT) | instid1(VALU_DEP_2)
	v_add_f64_e64 v[205:206], v[52:53], -v[42:43]
	v_fma_f64 v[76:77], v[2:3], v[6:7], v[0:1]
	global_load_b128 v[6:9], v[20:21], off offset:4736
	ds_load_b128 v[0:3], v150 offset:33600
	v_add_f64_e64 v[190:191], v[54:55], -v[76:77]
	s_wait_loadcnt_dscnt 0x0
	v_mul_f64_e32 v[4:5], v[2:3], v[8:9]
	scratch_store_b128 off, v[6:9], off offset:1376 ; 16-byte Folded Spill
	v_fma_f64 v[74:75], v[0:1], v[6:7], -v[4:5]
	v_mul_f64_e32 v[0:1], v[0:1], v[8:9]
	s_delay_alu instid0(VALU_DEP_1)
	v_fma_f64 v[32:33], v[2:3], v[6:7], v[0:1]
	global_load_b128 v[6:9], v[20:21], off offset:4752
	ds_load_b128 v[0:3], v150 offset:38400
	v_add_f64_e32 v[22:23], v[22:23], v[32:33]
	s_wait_loadcnt_dscnt 0x0
	v_mul_f64_e32 v[4:5], v[2:3], v[8:9]
	scratch_store_b128 off, v[6:9], off offset:1392 ; 16-byte Folded Spill
	v_fma_f64 v[30:31], v[0:1], v[6:7], -v[4:5]
	v_mul_f64_e32 v[0:1], v[0:1], v[8:9]
	s_delay_alu instid0(VALU_DEP_1)
	v_fma_f64 v[90:91], v[2:3], v[6:7], v[0:1]
	global_load_b128 v[6:9], v[20:21], off offset:4768
	ds_load_b128 v[0:3], v150 offset:43200
	s_wait_loadcnt_dscnt 0x0
	v_mul_f64_e32 v[4:5], v[2:3], v[8:9]
	scratch_store_b128 off, v[6:9], off offset:1408 ; 16-byte Folded Spill
	v_fma_f64 v[102:103], v[0:1], v[6:7], -v[4:5]
	v_mul_f64_e32 v[0:1], v[0:1], v[8:9]
	s_delay_alu instid0(VALU_DEP_2) | instskip(NEXT) | instid1(VALU_DEP_2)
	v_add_f64_e64 v[192:193], v[68:69], -v[102:103]
	v_fma_f64 v[24:25], v[2:3], v[6:7], v[0:1]
	global_load_b128 v[6:9], v[20:21], off offset:19040
	ds_load_b128 v[0:3], v150 offset:6400
	v_add_f64_e32 v[22:23], v[22:23], v[24:25]
	v_add_f64_e64 v[162:163], v[70:71], -v[24:25]
	s_wait_loadcnt_dscnt 0x0
	v_mul_f64_e32 v[4:5], v[2:3], v[8:9]
	scratch_store_b128 off, v[6:9], off offset:1424 ; 16-byte Folded Spill
	v_fma_f64 v[194:195], v[0:1], v[6:7], -v[4:5]
	v_mul_f64_e32 v[0:1], v[0:1], v[8:9]
	s_delay_alu instid0(VALU_DEP_1)
	v_fma_f64 v[187:188], v[2:3], v[6:7], v[0:1]
	global_load_b128 v[6:9], v[20:21], off offset:19056
	ds_load_b128 v[0:3], v150 offset:11200
	s_wait_loadcnt_dscnt 0x0
	v_mul_f64_e32 v[4:5], v[2:3], v[8:9]
	scratch_store_b128 off, v[6:9], off offset:1440 ; 16-byte Folded Spill
	v_fma_f64 v[56:57], v[0:1], v[6:7], -v[4:5]
	v_mul_f64_e32 v[0:1], v[0:1], v[8:9]
	s_delay_alu instid0(VALU_DEP_1)
	v_fma_f64 v[84:85], v[2:3], v[6:7], v[0:1]
	global_load_b128 v[6:9], v[20:21], off offset:19072
	ds_load_b128 v[0:3], v150 offset:16000
	s_wait_loadcnt_dscnt 0x0
	v_mul_f64_e32 v[4:5], v[2:3], v[8:9]
	scratch_store_b128 off, v[6:9], off offset:1456 ; 16-byte Folded Spill
	v_fma_f64 v[50:51], v[0:1], v[6:7], -v[4:5]
	v_mul_f64_e32 v[0:1], v[0:1], v[8:9]
	s_delay_alu instid0(VALU_DEP_1)
	v_fma_f64 v[48:49], v[2:3], v[6:7], v[0:1]
	global_load_b128 v[6:9], v[20:21], off offset:19088
	ds_load_b128 v[0:3], v150 offset:20800
	s_wait_loadcnt_dscnt 0x0
	v_mul_f64_e32 v[4:5], v[2:3], v[8:9]
	scratch_store_b128 off, v[6:9], off offset:1472 ; 16-byte Folded Spill
	v_fma_f64 v[44:45], v[0:1], v[6:7], -v[4:5]
	v_mul_f64_e32 v[0:1], v[0:1], v[8:9]
	s_delay_alu instid0(VALU_DEP_1)
	v_fma_f64 v[62:63], v[2:3], v[6:7], v[0:1]
	global_load_b128 v[6:9], v[20:21], off offset:19104
	ds_load_b128 v[0:3], v150 offset:25600
	v_add_f64_e32 v[20:21], v[52:53], v[42:43]
	s_wait_loadcnt_dscnt 0x0
	v_mul_f64_e32 v[4:5], v[2:3], v[8:9]
	scratch_store_b128 off, v[6:9], off offset:1488 ; 16-byte Folded Spill
	v_fma_f64 v[88:89], v[0:1], v[6:7], -v[4:5]
	v_mul_f64_e32 v[0:1], v[0:1], v[8:9]
	s_delay_alu instid0(VALU_DEP_1) | instskip(SKIP_4) | instid1(VALU_DEP_1)
	v_fma_f64 v[40:41], v[2:3], v[6:7], v[0:1]
	ds_load_b128 v[0:3], v150 offset:30400
	v_add_f64_e64 v[6:7], v[64:65], -v[74:75]
	s_wait_dscnt 0x0
	v_mul_f64_e32 v[4:5], v[2:3], v[254:255]
	v_fma_f64 v[38:39], v[0:1], v[252:253], -v[4:5]
	v_mul_f64_e32 v[0:1], v[0:1], v[254:255]
	s_delay_alu instid0(VALU_DEP_1) | instskip(SKIP_3) | instid1(VALU_DEP_1)
	v_fma_f64 v[86:87], v[2:3], v[252:253], v[0:1]
	ds_load_b128 v[0:3], v150 offset:35200
	s_wait_dscnt 0x0
	v_mul_f64_e32 v[4:5], v[2:3], v[242:243]
	v_fma_f64 v[94:95], v[0:1], v[240:241], -v[4:5]
	v_mul_f64_e32 v[0:1], v[0:1], v[242:243]
	s_delay_alu instid0(VALU_DEP_1) | instskip(SKIP_3) | instid1(VALU_DEP_1)
	v_fma_f64 v[26:27], v[2:3], v[240:241], v[0:1]
	ds_load_b128 v[0:3], v150 offset:40000
	;; [unrolled: 7-line block ×3, first 2 shown]
	s_wait_dscnt 0x0
	v_mul_f64_e32 v[4:5], v[2:3], v[238:239]
	v_fma_f64 v[118:119], v[0:1], v[236:237], -v[4:5]
	v_mul_f64_e32 v[0:1], v[0:1], v[238:239]
	v_add_f64_e64 v[4:5], v[46:47], -v[32:33]
	s_delay_alu instid0(VALU_DEP_2) | instskip(SKIP_3) | instid1(VALU_DEP_1)
	v_fma_f64 v[12:13], v[2:3], v[236:237], v[0:1]
	ds_load_b128 v[0:3], v150 offset:8000
	s_wait_dscnt 0x0
	v_mul_f64_e32 v[8:9], v[2:3], v[234:235]
	v_fma_f64 v[130:131], v[0:1], v[232:233], -v[8:9]
	v_mul_f64_e32 v[0:1], v[0:1], v[234:235]
	s_delay_alu instid0(VALU_DEP_1) | instskip(SKIP_3) | instid1(VALU_DEP_1)
	v_fma_f64 v[124:125], v[2:3], v[232:233], v[0:1]
	ds_load_b128 v[0:3], v150 offset:12800
	s_wait_dscnt 0x0
	v_mul_f64_e32 v[8:9], v[2:3], v[230:231]
	v_fma_f64 v[80:81], v[0:1], v[228:229], -v[8:9]
	v_mul_f64_e32 v[0:1], v[0:1], v[230:231]
	s_delay_alu instid0(VALU_DEP_1) | instskip(SKIP_3) | instid1(VALU_DEP_1)
	;; [unrolled: 7-line block ×6, first 2 shown]
	v_fma_f64 v[106:107], v[2:3], v[197:198], v[0:1]
	ds_load_b128 v[0:3], v150 offset:36800
	s_wait_dscnt 0x0
	v_mul_f64_e32 v[10:11], v[2:3], v[203:204]
	v_fma_f64 v[60:61], v[0:1], v[201:202], -v[10:11]
	v_mul_f64_e32 v[0:1], v[0:1], v[203:204]
	s_delay_alu instid0(VALU_DEP_1) | instskip(SKIP_2) | instid1(VALU_DEP_2)
	v_fma_f64 v[34:35], v[2:3], v[201:202], v[0:1]
	v_mul_f64_e32 v[0:1], v[18:19], v[214:215]
	v_add_f64_e64 v[2:3], v[92:93], -v[90:91]
	v_fma_f64 v[10:11], v[16:17], v[212:213], -v[0:1]
	v_mul_f64_e32 v[0:1], v[16:17], v[214:215]
	s_delay_alu instid0(VALU_DEP_1) | instskip(SKIP_3) | instid1(VALU_DEP_1)
	v_fma_f64 v[72:73], v[18:19], v[212:213], v[0:1]
	ds_load_b128 v[16:19], v150 offset:46400
	s_wait_dscnt 0x0
	v_mul_f64_e32 v[0:1], v[18:19], v[218:219]
	v_fma_f64 v[126:127], v[16:17], v[216:217], -v[0:1]
	v_mul_f64_e32 v[0:1], v[16:17], v[218:219]
	s_delay_alu instid0(VALU_DEP_1)
	v_fma_f64 v[8:9], v[18:19], v[216:217], v[0:1]
	ds_load_b128 v[16:19], v150
	v_add_f64_e64 v[0:1], v[96:97], -v[30:31]
	s_wait_dscnt 0x0
	v_fma_f64 v[116:117], v[20:21], -0.5, v[16:17]
	v_add_f64_e32 v[20:21], v[96:97], v[30:31]
	s_delay_alu instid0(VALU_DEP_1) | instskip(SKIP_2) | instid1(VALU_DEP_2)
	v_fma_f64 v[104:105], v[20:21], -0.5, v[16:17]
	v_add_f64_e32 v[20:21], v[54:55], v[76:77]
	v_add_f64_e32 v[16:17], v[16:17], v[96:97]
	v_fma_f64 v[140:141], v[20:21], -0.5, v[18:19]
	v_add_f64_e32 v[20:21], v[92:93], v[90:91]
	s_delay_alu instid0(VALU_DEP_3) | instskip(NEXT) | instid1(VALU_DEP_2)
	v_add_f64_e32 v[16:17], v[16:17], v[52:53]
	v_fma_f64 v[138:139], v[20:21], -0.5, v[18:19]
	v_add_f64_e32 v[20:21], v[144:145], v[68:69]
	v_add_f64_e32 v[18:19], v[18:19], v[92:93]
	s_delay_alu instid0(VALU_DEP_4) | instskip(NEXT) | instid1(VALU_DEP_3)
	v_add_f64_e32 v[16:17], v[16:17], v[42:43]
	v_add_f64_e32 v[20:21], v[20:21], v[64:65]
	s_delay_alu instid0(VALU_DEP_3) | instskip(NEXT) | instid1(VALU_DEP_3)
	v_add_f64_e32 v[18:19], v[18:19], v[54:55]
	v_add_f64_e32 v[16:17], v[16:17], v[30:31]
	s_delay_alu instid0(VALU_DEP_3) | instskip(NEXT) | instid1(VALU_DEP_3)
	v_add_f64_e32 v[20:21], v[20:21], v[74:75]
	v_add_f64_e32 v[18:19], v[18:19], v[76:77]
	s_delay_alu instid0(VALU_DEP_2) | instskip(NEXT) | instid1(VALU_DEP_2)
	v_add_f64_e32 v[20:21], v[20:21], v[102:103]
	v_add_f64_e32 v[18:19], v[18:19], v[90:91]
	s_delay_alu instid0(VALU_DEP_2) | instskip(SKIP_2) | instid1(VALU_DEP_4)
	v_add_f64_e32 v[120:121], v[16:17], v[20:21]
	v_add_f64_e64 v[156:157], v[16:17], -v[20:21]
	v_add_f64_e32 v[20:21], v[44:45], v[38:39]
	v_add_f64_e32 v[122:123], v[18:19], v[22:23]
	v_add_f64_e64 v[158:159], v[18:19], -v[22:23]
	ds_load_b128 v[16:19], v150 offset:1600
	v_add_f64_e32 v[22:23], v[187:188], v[48:49]
	s_wait_dscnt 0x0
	v_fma_f64 v[114:115], v[20:21], -0.5, v[16:17]
	v_add_f64_e32 v[20:21], v[56:57], v[14:15]
	s_delay_alu instid0(VALU_DEP_3) | instskip(NEXT) | instid1(VALU_DEP_2)
	v_add_f64_e32 v[22:23], v[22:23], v[40:41]
	v_fma_f64 v[112:113], v[20:21], -0.5, v[16:17]
	v_add_f64_e32 v[20:21], v[62:63], v[86:87]
	v_add_f64_e32 v[16:17], v[16:17], v[56:57]
	s_delay_alu instid0(VALU_DEP_4) | instskip(NEXT) | instid1(VALU_DEP_3)
	v_add_f64_e32 v[22:23], v[22:23], v[26:27]
	v_fma_f64 v[136:137], v[20:21], -0.5, v[18:19]
	v_add_f64_e32 v[20:21], v[84:85], v[58:59]
	s_delay_alu instid0(VALU_DEP_4) | instskip(NEXT) | instid1(VALU_DEP_4)
	v_add_f64_e32 v[16:17], v[16:17], v[44:45]
	v_add_f64_e32 v[22:23], v[22:23], v[12:13]
	s_delay_alu instid0(VALU_DEP_3) | instskip(SKIP_3) | instid1(VALU_DEP_3)
	v_fma_f64 v[152:153], v[20:21], -0.5, v[18:19]
	v_add_f64_e32 v[20:21], v[194:195], v[50:51]
	v_add_f64_e32 v[18:19], v[18:19], v[84:85]
	;; [unrolled: 1-line block ×4, first 2 shown]
	s_delay_alu instid0(VALU_DEP_3) | instskip(NEXT) | instid1(VALU_DEP_3)
	v_add_f64_e32 v[18:19], v[18:19], v[62:63]
	v_add_f64_e32 v[16:17], v[16:17], v[14:15]
	s_delay_alu instid0(VALU_DEP_3) | instskip(NEXT) | instid1(VALU_DEP_3)
	v_add_f64_e32 v[20:21], v[20:21], v[94:95]
	v_add_f64_e32 v[18:19], v[18:19], v[86:87]
	s_delay_alu instid0(VALU_DEP_2) | instskip(NEXT) | instid1(VALU_DEP_2)
	v_add_f64_e32 v[20:21], v[20:21], v[118:119]
	v_add_f64_e32 v[18:19], v[18:19], v[58:59]
	s_delay_alu instid0(VALU_DEP_2) | instskip(SKIP_2) | instid1(VALU_DEP_4)
	v_add_f64_e32 v[108:109], v[16:17], v[20:21]
	v_add_f64_e64 v[132:133], v[16:17], -v[20:21]
	v_add_f64_e32 v[20:21], v[66:67], v[28:29]
	v_add_f64_e32 v[110:111], v[18:19], v[22:23]
	v_add_f64_e64 v[134:135], v[18:19], -v[22:23]
	ds_load_b128 v[16:19], v150 offset:3200
	v_add_f64_e32 v[22:23], v[124:125], v[128:129]
	s_wait_dscnt 0x0
	v_fma_f64 v[100:101], v[20:21], -0.5, v[16:17]
	v_add_f64_e32 v[20:21], v[80:81], v[10:11]
	s_delay_alu instid0(VALU_DEP_3) | instskip(NEXT) | instid1(VALU_DEP_2)
	v_add_f64_e32 v[22:23], v[22:23], v[36:37]
	v_fma_f64 v[172:173], v[20:21], -0.5, v[16:17]
	v_add_f64_e32 v[20:21], v[78:79], v[106:107]
	v_add_f64_e32 v[16:17], v[16:17], v[80:81]
	s_delay_alu instid0(VALU_DEP_4) | instskip(NEXT) | instid1(VALU_DEP_3)
	v_add_f64_e32 v[22:23], v[22:23], v[34:35]
	v_fma_f64 v[174:175], v[20:21], -0.5, v[18:19]
	v_add_f64_e32 v[20:21], v[82:83], v[72:73]
	s_delay_alu instid0(VALU_DEP_4) | instskip(NEXT) | instid1(VALU_DEP_4)
	v_add_f64_e32 v[16:17], v[16:17], v[66:67]
	v_add_f64_e32 v[22:23], v[22:23], v[8:9]
	s_delay_alu instid0(VALU_DEP_3) | instskip(SKIP_3) | instid1(VALU_DEP_3)
	v_fma_f64 v[176:177], v[20:21], -0.5, v[18:19]
	v_add_f64_e32 v[18:19], v[18:19], v[82:83]
	v_add_f64_e32 v[20:21], v[130:131], v[154:155]
	v_add_f64_e32 v[16:17], v[16:17], v[28:29]
	v_add_f64_e32 v[18:19], v[18:19], v[78:79]
	s_delay_alu instid0(VALU_DEP_3) | instskip(NEXT) | instid1(VALU_DEP_3)
	v_add_f64_e32 v[20:21], v[20:21], v[98:99]
	v_add_f64_e32 v[146:147], v[16:17], v[10:11]
	s_delay_alu instid0(VALU_DEP_3) | instskip(NEXT) | instid1(VALU_DEP_3)
	v_add_f64_e32 v[18:19], v[18:19], v[106:107]
	v_add_f64_e32 v[20:21], v[20:21], v[60:61]
	s_delay_alu instid0(VALU_DEP_2) | instskip(NEXT) | instid1(VALU_DEP_2)
	v_add_f64_e32 v[148:149], v[18:19], v[72:73]
	v_add_f64_e32 v[20:21], v[20:21], v[126:127]
	s_delay_alu instid0(VALU_DEP_2) | instskip(NEXT) | instid1(VALU_DEP_2)
	v_add_f64_e32 v[18:19], v[148:149], v[22:23]
	v_add_f64_e32 v[16:17], v[146:147], v[20:21]
	v_add_f64_e64 v[20:21], v[146:147], -v[20:21]
	v_add_f64_e64 v[22:23], v[148:149], -v[22:23]
	;; [unrolled: 1-line block ×8, first 2 shown]
	v_add_f64_e32 v[168:169], v[146:147], v[148:149]
	v_add_f64_e64 v[146:147], v[92:93], -v[54:55]
	v_add_f64_e64 v[148:149], v[90:91], -v[76:77]
	;; [unrolled: 1-line block ×3, first 2 shown]
	v_add_f64_e32 v[76:77], v[52:53], v[30:31]
	s_delay_alu instid0(VALU_DEP_3) | instskip(SKIP_3) | instid1(VALU_DEP_2)
	v_add_f64_e32 v[170:171], v[146:147], v[148:149]
	v_add_f64_e64 v[146:147], v[68:69], -v[64:65]
	v_add_f64_e64 v[148:149], v[102:103], -v[74:75]
	v_add_f64_e32 v[42:43], v[42:43], v[54:55]
	v_add_f64_e32 v[178:179], v[146:147], v[148:149]
	v_add_f64_e64 v[146:147], v[70:71], -v[46:47]
	v_add_f64_e64 v[148:149], v[24:25], -v[32:33]
	s_delay_alu instid0(VALU_DEP_1) | instskip(SKIP_4) | instid1(VALU_DEP_4)
	v_add_f64_e32 v[180:181], v[146:147], v[148:149]
	v_add_f64_e32 v[146:147], v[64:65], v[74:75]
	v_add_f64_e64 v[64:65], v[64:65], -v[68:69]
	v_add_f64_e32 v[68:69], v[68:69], v[102:103]
	v_add_f64_e64 v[74:75], v[74:75], -v[102:103]
	v_fma_f64 v[182:183], v[146:147], -0.5, v[144:145]
	v_add_f64_e32 v[146:147], v[46:47], v[32:33]
	v_add_f64_e64 v[46:47], v[46:47], -v[70:71]
	v_add_f64_e32 v[70:71], v[70:71], v[24:25]
	v_add_f64_e64 v[24:25], v[32:33], -v[24:25]
	v_fma_f64 v[68:69], v[68:69], -0.5, v[144:145]
	v_add_f64_e32 v[64:65], v[64:65], v[74:75]
	v_fma_f64 v[148:149], v[162:163], s[16:17], v[182:183]
	v_fma_f64 v[185:186], v[146:147], -0.5, v[142:143]
	v_fma_f64 v[70:71], v[70:71], -0.5, v[142:143]
	v_add_f64_e32 v[24:25], v[46:47], v[24:25]
	v_fma_f64 v[32:33], v[4:5], s[18:19], v[68:69]
	v_fma_f64 v[68:69], v[4:5], s[16:17], v[68:69]
	;; [unrolled: 1-line block ×15, first 2 shown]
	s_delay_alu instid0(VALU_DEP_3) | instskip(NEXT) | instid1(VALU_DEP_3)
	v_fma_f64 v[68:69], v[192:193], s[2:3], v[68:69]
	v_mul_f64_e32 v[160:161], s[2:3], v[146:147]
	s_delay_alu instid0(VALU_DEP_3) | instskip(NEXT) | instid1(VALU_DEP_3)
	v_mul_f64_e32 v[46:47], s[16:17], v[30:31]
	v_fma_f64 v[24:25], v[24:25], s[14:15], v[68:69]
	v_mul_f64_e32 v[68:69], s[24:25], v[64:65]
	s_delay_alu instid0(VALU_DEP_4) | instskip(SKIP_3) | instid1(VALU_DEP_3)
	v_fma_f64 v[160:161], v[148:149], s[20:21], v[160:161]
	v_mul_f64_e32 v[148:149], s[12:13], v[148:149]
	v_fma_f64 v[46:47], v[32:33], s[14:15], v[46:47]
	v_mul_f64_e32 v[32:33], s[18:19], v[32:33]
	v_fma_f64 v[166:167], v[146:147], s[20:21], v[148:149]
	v_fma_f64 v[146:147], v[2:3], s[16:17], v[116:117]
	s_delay_alu instid0(VALU_DEP_3) | instskip(SKIP_4) | instid1(VALU_DEP_4)
	v_fma_f64 v[54:55], v[30:31], s[14:15], v[32:33]
	v_fma_f64 v[32:33], v[205:206], s[16:17], v[138:139]
	;; [unrolled: 1-line block ×6, first 2 shown]
	s_delay_alu instid0(VALU_DEP_4) | instskip(NEXT) | instid1(VALU_DEP_4)
	v_fma_f64 v[30:31], v[2:3], s[2:3], v[30:31]
	v_fma_f64 v[148:149], v[205:206], s[12:13], v[148:149]
	s_delay_alu instid0(VALU_DEP_4) | instskip(NEXT) | instid1(VALU_DEP_4)
	v_fma_f64 v[164:165], v[168:169], s[14:15], v[146:147]
	v_fma_f64 v[74:75], v[42:43], s[14:15], v[32:33]
	s_delay_alu instid0(VALU_DEP_4) | instskip(NEXT) | instid1(VALU_DEP_4)
	v_fma_f64 v[52:53], v[76:77], s[14:15], v[30:31]
	v_fma_f64 v[249:250], v[170:171], s[14:15], v[148:149]
	s_delay_alu instid0(VALU_DEP_4)
	v_add_f64_e32 v[146:147], v[164:165], v[160:161]
	v_add_f64_e64 v[164:165], v[164:165], -v[160:161]
	v_add_f64_e32 v[32:33], v[74:75], v[54:55]
	v_add_f64_e64 v[54:55], v[74:75], -v[54:55]
	v_fma_f64 v[74:75], v[205:206], s[18:19], v[138:139]
	v_add_f64_e32 v[30:31], v[52:53], v[46:47]
	v_add_f64_e64 v[52:53], v[52:53], -v[46:47]
	v_fma_f64 v[46:47], v[190:191], s[16:17], v[104:105]
	v_add_f64_e64 v[160:161], v[48:49], -v[12:13]
	v_add_f64_e32 v[148:149], v[249:250], v[166:167]
	v_add_f64_e64 v[166:167], v[249:250], -v[166:167]
	v_fma_f64 v[74:75], v[0:1], s[2:3], v[74:75]
	v_fma_f64 v[0:1], v[0:1], s[16:17], v[140:141]
	v_fma_f64 v[46:47], v[2:3], s[12:13], v[46:47]
	v_fma_f64 v[2:3], v[2:3], s[18:19], v[116:117]
	v_add_f64_e64 v[116:117], v[88:89], -v[94:95]
	v_fma_f64 v[42:43], v[42:43], s[14:15], v[74:75]
	v_fma_f64 v[74:75], v[24:25], s[16:17], v[68:69]
	v_mul_f64_e32 v[24:25], s[24:25], v[24:25]
	v_fma_f64 v[46:47], v[76:77], s[14:15], v[46:47]
	v_fma_f64 v[2:3], v[190:191], s[12:13], v[2:3]
	;; [unrolled: 1-line block ×3, first 2 shown]
	s_delay_alu instid0(VALU_DEP_4) | instskip(NEXT) | instid1(VALU_DEP_4)
	v_fma_f64 v[24:25], v[64:65], s[18:19], v[24:25]
	v_add_f64_e32 v[68:69], v[46:47], v[74:75]
	s_delay_alu instid0(VALU_DEP_4) | instskip(NEXT) | instid1(VALU_DEP_4)
	v_fma_f64 v[2:3], v[168:169], s[14:15], v[2:3]
	v_fma_f64 v[0:1], v[170:171], s[14:15], v[0:1]
	v_add_f64_e64 v[74:75], v[46:47], -v[74:75]
	v_add_f64_e32 v[70:71], v[42:43], v[24:25]
	v_add_f64_e64 v[76:77], v[42:43], -v[24:25]
	v_fma_f64 v[24:25], v[162:163], s[18:19], v[182:183]
	v_fma_f64 v[42:43], v[192:193], s[16:17], v[185:186]
	v_add_f64_e64 v[162:163], v[40:41], -v[26:27]
	v_add_f64_e64 v[182:183], v[56:57], -v[14:15]
	;; [unrolled: 1-line block ×3, first 2 shown]
	v_fma_f64 v[4:5], v[4:5], s[12:13], v[24:25]
	v_fma_f64 v[6:7], v[6:7], s[2:3], v[42:43]
	s_delay_alu instid0(VALU_DEP_4) | instskip(NEXT) | instid1(VALU_DEP_3)
	v_fma_f64 v[46:47], v[182:183], s[18:19], v[136:137]
	v_fma_f64 v[4:5], v[178:179], s[14:15], v[4:5]
	s_delay_alu instid0(VALU_DEP_3) | instskip(SKIP_4) | instid1(VALU_DEP_1)
	v_fma_f64 v[6:7], v[180:181], s[14:15], v[6:7]
	v_add_f64_e64 v[178:179], v[84:85], -v[58:59]
	v_add_f64_e64 v[180:181], v[62:63], -v[86:87]
	v_fma_f64 v[46:47], v[185:186], s[12:13], v[46:47]
	v_mul_f64_e32 v[24:25], s[22:23], v[4:5]
	v_fma_f64 v[24:25], v[6:7], s[2:3], v[24:25]
	v_mul_f64_e32 v[6:7], s[22:23], v[6:7]
	s_delay_alu instid0(VALU_DEP_2) | instskip(NEXT) | instid1(VALU_DEP_2)
	v_add_f64_e32 v[102:103], v[2:3], v[24:25]
	v_fma_f64 v[4:5], v[4:5], s[12:13], v[6:7]
	v_add_f64_e64 v[138:139], v[2:3], -v[24:25]
	v_add_f64_e64 v[2:3], v[14:15], -v[38:39]
	;; [unrolled: 1-line block ×3, first 2 shown]
	s_delay_alu instid0(VALU_DEP_4) | instskip(SKIP_3) | instid1(VALU_DEP_2)
	v_add_f64_e32 v[104:105], v[0:1], v[4:5]
	v_add_f64_e64 v[140:141], v[0:1], -v[4:5]
	v_add_f64_e64 v[0:1], v[56:57], -v[44:45]
	;; [unrolled: 1-line block ×3, first 2 shown]
	v_add_f64_e32 v[0:1], v[0:1], v[2:3]
	v_add_f64_e64 v[2:3], v[84:85], -v[62:63]
	s_delay_alu instid0(VALU_DEP_1) | instskip(SKIP_1) | instid1(VALU_DEP_2)
	v_add_f64_e32 v[2:3], v[2:3], v[4:5]
	v_add_f64_e64 v[4:5], v[50:51], -v[88:89]
	v_fma_f64 v[46:47], v[2:3], s[14:15], v[46:47]
	s_delay_alu instid0(VALU_DEP_2) | instskip(SKIP_2) | instid1(VALU_DEP_1)
	v_add_f64_e32 v[42:43], v[4:5], v[6:7]
	v_add_f64_e64 v[4:5], v[48:49], -v[40:41]
	v_add_f64_e64 v[6:7], v[12:13], -v[26:27]
	v_add_f64_e32 v[64:65], v[4:5], v[6:7]
	v_add_f64_e32 v[4:5], v[88:89], v[94:95]
	s_delay_alu instid0(VALU_DEP_1)
	v_fma_f64 v[90:91], v[4:5], -0.5, v[194:195]
	v_add_f64_e32 v[4:5], v[40:41], v[26:27]
	v_add_f64_e64 v[40:41], v[40:41], -v[48:49]
	v_add_f64_e32 v[48:49], v[48:49], v[12:13]
	v_add_f64_e64 v[12:13], v[26:27], -v[12:13]
	v_fma_f64 v[6:7], v[160:161], s[16:17], v[90:91]
	v_fma_f64 v[92:93], v[4:5], -0.5, v[187:188]
	s_delay_alu instid0(VALU_DEP_4) | instskip(NEXT) | instid1(VALU_DEP_4)
	v_fma_f64 v[48:49], v[48:49], -0.5, v[187:188]
	v_add_f64_e32 v[12:13], v[40:41], v[12:13]
	s_delay_alu instid0(VALU_DEP_4) | instskip(NEXT) | instid1(VALU_DEP_4)
	v_fma_f64 v[6:7], v[162:163], s[2:3], v[6:7]
	v_fma_f64 v[4:5], v[96:97], s[18:19], v[92:93]
	s_delay_alu instid0(VALU_DEP_2) | instskip(NEXT) | instid1(VALU_DEP_2)
	v_fma_f64 v[6:7], v[42:43], s[14:15], v[6:7]
	v_fma_f64 v[4:5], v[116:117], s[12:13], v[4:5]
	s_delay_alu instid0(VALU_DEP_1) | instskip(NEXT) | instid1(VALU_DEP_1)
	v_fma_f64 v[4:5], v[64:65], s[14:15], v[4:5]
	v_mul_f64_e32 v[24:25], s[2:3], v[4:5]
	s_delay_alu instid0(VALU_DEP_1) | instskip(SKIP_1) | instid1(VALU_DEP_1)
	v_fma_f64 v[24:25], v[6:7], s[20:21], v[24:25]
	v_mul_f64_e32 v[6:7], s[12:13], v[6:7]
	v_fma_f64 v[4:5], v[4:5], s[20:21], v[6:7]
	v_fma_f64 v[6:7], v[178:179], s[16:17], v[114:115]
	s_delay_alu instid0(VALU_DEP_2) | instskip(NEXT) | instid1(VALU_DEP_2)
	v_add_f64_e32 v[144:145], v[46:47], v[4:5]
	v_fma_f64 v[6:7], v[180:181], s[2:3], v[6:7]
	v_add_f64_e64 v[170:171], v[46:47], -v[4:5]
	v_add_f64_e64 v[4:5], v[44:45], -v[56:57]
	v_add_f64_e32 v[44:45], v[50:51], v[118:119]
	v_add_f64_e64 v[46:47], v[94:95], -v[118:119]
	v_add_f64_e64 v[118:119], v[36:37], -v[34:35]
	v_fma_f64 v[6:7], v[0:1], s[14:15], v[6:7]
	s_delay_alu instid0(VALU_DEP_4) | instskip(NEXT) | instid1(VALU_DEP_2)
	v_fma_f64 v[44:45], v[44:45], -0.5, v[194:195]
	v_add_f64_e32 v[142:143], v[6:7], v[24:25]
	v_add_f64_e64 v[168:169], v[6:7], -v[24:25]
	v_add_f64_e64 v[6:7], v[38:39], -v[14:15]
	;; [unrolled: 1-line block ×5, first 2 shown]
	s_delay_alu instid0(VALU_DEP_4) | instskip(SKIP_4) | instid1(VALU_DEP_4)
	v_add_f64_e32 v[50:51], v[4:5], v[6:7]
	v_fma_f64 v[4:5], v[116:117], s[16:17], v[48:49]
	v_fma_f64 v[6:7], v[162:163], s[18:19], v[44:45]
	v_add_f64_e32 v[38:39], v[38:39], v[46:47]
	v_add_f64_e32 v[14:15], v[14:15], v[24:25]
	v_fma_f64 v[4:5], v[96:97], s[12:13], v[4:5]
	s_delay_alu instid0(VALU_DEP_4) | instskip(NEXT) | instid1(VALU_DEP_2)
	v_fma_f64 v[6:7], v[160:161], s[2:3], v[6:7]
	v_fma_f64 v[4:5], v[12:13], s[14:15], v[4:5]
	s_delay_alu instid0(VALU_DEP_2) | instskip(NEXT) | instid1(VALU_DEP_2)
	v_fma_f64 v[6:7], v[38:39], s[14:15], v[6:7]
	v_mul_f64_e32 v[24:25], s[16:17], v[4:5]
	s_delay_alu instid0(VALU_DEP_1) | instskip(SKIP_1) | instid1(VALU_DEP_1)
	v_fma_f64 v[24:25], v[6:7], s[14:15], v[24:25]
	v_mul_f64_e32 v[6:7], s[18:19], v[6:7]
	v_fma_f64 v[26:27], v[4:5], s[14:15], v[6:7]
	v_fma_f64 v[4:5], v[180:181], s[18:19], v[112:113]
	;; [unrolled: 1-line block ×3, first 2 shown]
	s_delay_alu instid0(VALU_DEP_2) | instskip(NEXT) | instid1(VALU_DEP_2)
	v_fma_f64 v[4:5], v[178:179], s[2:3], v[4:5]
	v_fma_f64 v[6:7], v[182:183], s[12:13], v[6:7]
	s_delay_alu instid0(VALU_DEP_2) | instskip(NEXT) | instid1(VALU_DEP_2)
	v_fma_f64 v[40:41], v[50:51], s[14:15], v[4:5]
	v_fma_f64 v[46:47], v[14:15], s[14:15], v[6:7]
	s_delay_alu instid0(VALU_DEP_2) | instskip(SKIP_2) | instid1(VALU_DEP_4)
	v_add_f64_e32 v[4:5], v[40:41], v[24:25]
	v_add_f64_e64 v[24:25], v[40:41], -v[24:25]
	v_fma_f64 v[40:41], v[180:181], s[16:17], v[112:113]
	v_add_f64_e32 v[6:7], v[46:47], v[26:27]
	v_add_f64_e64 v[26:27], v[46:47], -v[26:27]
	v_add_f64_e64 v[112:113], v[154:155], -v[126:127]
	s_delay_alu instid0(VALU_DEP_4) | instskip(NEXT) | instid1(VALU_DEP_1)
	v_fma_f64 v[40:41], v[178:179], s[12:13], v[40:41]
	v_fma_f64 v[46:47], v[50:51], s[14:15], v[40:41]
	;; [unrolled: 1-line block ×4, first 2 shown]
	v_add_f64_e64 v[152:153], v[78:79], -v[106:107]
	s_delay_alu instid0(VALU_DEP_3) | instskip(NEXT) | instid1(VALU_DEP_3)
	v_fma_f64 v[40:41], v[182:183], s[2:3], v[40:41]
	v_fma_f64 v[50:51], v[116:117], s[2:3], v[50:51]
	s_delay_alu instid0(VALU_DEP_2) | instskip(SKIP_1) | instid1(VALU_DEP_1)
	v_fma_f64 v[14:15], v[14:15], s[14:15], v[40:41]
	v_fma_f64 v[40:41], v[162:163], s[16:17], v[44:45]
	;; [unrolled: 1-line block ×3, first 2 shown]
	s_delay_alu instid0(VALU_DEP_1) | instskip(SKIP_4) | instid1(VALU_DEP_4)
	v_fma_f64 v[38:39], v[38:39], s[14:15], v[40:41]
	v_fma_f64 v[40:41], v[116:117], s[18:19], v[48:49]
	;; [unrolled: 1-line block ×3, first 2 shown]
	v_add_f64_e64 v[116:117], v[128:129], -v[8:9]
	v_add_f64_e64 v[136:137], v[82:83], -v[72:73]
	v_fma_f64 v[40:41], v[96:97], s[2:3], v[40:41]
	s_delay_alu instid0(VALU_DEP_4) | instskip(NEXT) | instid1(VALU_DEP_2)
	v_fma_f64 v[48:49], v[185:186], s[2:3], v[48:49]
	v_fma_f64 v[12:13], v[12:13], s[14:15], v[40:41]
	v_mul_f64_e32 v[40:41], s[24:25], v[38:39]
	s_delay_alu instid0(VALU_DEP_3) | instskip(NEXT) | instid1(VALU_DEP_2)
	v_fma_f64 v[2:3], v[2:3], s[14:15], v[48:49]
	v_fma_f64 v[44:45], v[12:13], s[16:17], v[40:41]
	v_mul_f64_e32 v[12:13], s[24:25], v[12:13]
	s_delay_alu instid0(VALU_DEP_1) | instskip(NEXT) | instid1(VALU_DEP_3)
	v_fma_f64 v[12:13], v[38:39], s[18:19], v[12:13]
	v_add_f64_e32 v[38:39], v[46:47], v[44:45]
	v_add_f64_e64 v[44:45], v[46:47], -v[44:45]
	s_delay_alu instid0(VALU_DEP_3)
	v_add_f64_e32 v[40:41], v[14:15], v[12:13]
	v_add_f64_e64 v[46:47], v[14:15], -v[12:13]
	v_fma_f64 v[12:13], v[160:161], s[18:19], v[90:91]
	v_fma_f64 v[14:15], v[178:179], s[18:19], v[114:115]
	v_add_f64_e64 v[114:115], v[98:99], -v[60:61]
	v_add_f64_e64 v[160:161], v[80:81], -v[10:11]
	s_delay_alu instid0(VALU_DEP_4) | instskip(NEXT) | instid1(VALU_DEP_4)
	v_fma_f64 v[12:13], v[162:163], s[12:13], v[12:13]
	v_fma_f64 v[14:15], v[180:181], s[12:13], v[14:15]
	v_add_f64_e64 v[162:163], v[66:67], -v[28:29]
	s_delay_alu instid0(VALU_DEP_3) | instskip(NEXT) | instid1(VALU_DEP_3)
	v_fma_f64 v[12:13], v[42:43], s[14:15], v[12:13]
	v_fma_f64 v[0:1], v[0:1], s[14:15], v[14:15]
	;; [unrolled: 1-line block ×3, first 2 shown]
	s_delay_alu instid0(VALU_DEP_3) | instskip(NEXT) | instid1(VALU_DEP_1)
	v_mul_f64_e32 v[42:43], s[22:23], v[12:13]
	v_fma_f64 v[42:43], v[14:15], s[2:3], v[42:43]
	v_mul_f64_e32 v[14:15], s[22:23], v[14:15]
	s_delay_alu instid0(VALU_DEP_2) | instskip(NEXT) | instid1(VALU_DEP_2)
	v_add_f64_e32 v[48:49], v[0:1], v[42:43]
	v_fma_f64 v[12:13], v[12:13], s[12:13], v[14:15]
	v_add_f64_e64 v[56:57], v[0:1], -v[42:43]
	v_add_f64_e64 v[0:1], v[80:81], -v[66:67]
	v_fma_f64 v[14:15], v[160:161], s[18:19], v[174:175]
	s_delay_alu instid0(VALU_DEP_4) | instskip(SKIP_2) | instid1(VALU_DEP_4)
	v_add_f64_e32 v[50:51], v[2:3], v[12:13]
	v_add_f64_e64 v[58:59], v[2:3], -v[12:13]
	v_add_f64_e64 v[2:3], v[10:11], -v[28:29]
	v_fma_f64 v[14:15], v[162:163], s[12:13], v[14:15]
	s_delay_alu instid0(VALU_DEP_2) | instskip(SKIP_2) | instid1(VALU_DEP_1)
	v_add_f64_e32 v[42:43], v[0:1], v[2:3]
	v_add_f64_e64 v[0:1], v[82:83], -v[78:79]
	v_add_f64_e64 v[2:3], v[72:73], -v[106:107]
	v_add_f64_e32 v[84:85], v[0:1], v[2:3]
	v_add_f64_e64 v[0:1], v[154:155], -v[98:99]
	v_add_f64_e64 v[2:3], v[126:127], -v[60:61]
	s_delay_alu instid0(VALU_DEP_3) | instskip(NEXT) | instid1(VALU_DEP_2)
	v_fma_f64 v[14:15], v[84:85], s[14:15], v[14:15]
	v_add_f64_e32 v[90:91], v[0:1], v[2:3]
	v_add_f64_e64 v[0:1], v[128:129], -v[36:37]
	v_add_f64_e64 v[2:3], v[8:9], -v[34:35]
	s_delay_alu instid0(VALU_DEP_1) | instskip(SKIP_2) | instid1(VALU_DEP_2)
	v_add_f64_e32 v[92:93], v[0:1], v[2:3]
	v_add_f64_e32 v[0:1], v[98:99], v[60:61]
	v_add_f64_e64 v[60:61], v[60:61], -v[126:127]
	v_fma_f64 v[94:95], v[0:1], -0.5, v[130:131]
	v_add_f64_e32 v[0:1], v[36:37], v[34:35]
	v_add_f64_e64 v[36:37], v[36:37], -v[128:129]
	s_delay_alu instid0(VALU_DEP_3) | instskip(NEXT) | instid1(VALU_DEP_3)
	v_fma_f64 v[2:3], v[116:117], s[16:17], v[94:95]
	v_fma_f64 v[96:97], v[0:1], -0.5, v[124:125]
	s_delay_alu instid0(VALU_DEP_2) | instskip(NEXT) | instid1(VALU_DEP_2)
	v_fma_f64 v[2:3], v[118:119], s[2:3], v[2:3]
	v_fma_f64 v[0:1], v[112:113], s[18:19], v[96:97]
	s_delay_alu instid0(VALU_DEP_2) | instskip(NEXT) | instid1(VALU_DEP_2)
	v_fma_f64 v[2:3], v[90:91], s[14:15], v[2:3]
	v_fma_f64 v[0:1], v[114:115], s[12:13], v[0:1]
	s_delay_alu instid0(VALU_DEP_1) | instskip(NEXT) | instid1(VALU_DEP_1)
	v_fma_f64 v[0:1], v[92:93], s[14:15], v[0:1]
	v_mul_f64_e32 v[12:13], s[2:3], v[0:1]
	s_delay_alu instid0(VALU_DEP_1) | instskip(SKIP_1) | instid1(VALU_DEP_1)
	v_fma_f64 v[12:13], v[2:3], s[20:21], v[12:13]
	v_mul_f64_e32 v[2:3], s[12:13], v[2:3]
	v_fma_f64 v[0:1], v[0:1], s[20:21], v[2:3]
	v_fma_f64 v[2:3], v[136:137], s[16:17], v[100:101]
	s_delay_alu instid0(VALU_DEP_2) | instskip(NEXT) | instid1(VALU_DEP_2)
	v_add_f64_e32 v[64:65], v[14:15], v[0:1]
	v_fma_f64 v[2:3], v[152:153], s[2:3], v[2:3]
	v_add_f64_e64 v[88:89], v[14:15], -v[0:1]
	v_add_f64_e64 v[0:1], v[66:67], -v[80:81]
	v_add_f64_e32 v[66:67], v[128:129], v[8:9]
	v_add_f64_e64 v[8:9], v[34:35], -v[8:9]
	v_add_f64_e64 v[14:15], v[98:99], -v[154:155]
	v_fma_f64 v[2:3], v[42:43], s[14:15], v[2:3]
	s_delay_alu instid0(VALU_DEP_4) | instskip(NEXT) | instid1(VALU_DEP_4)
	v_fma_f64 v[34:35], v[66:67], -0.5, v[124:125]
	v_add_f64_e32 v[36:37], v[36:37], v[8:9]
	s_delay_alu instid0(VALU_DEP_4) | instskip(NEXT) | instid1(VALU_DEP_4)
	v_add_f64_e32 v[14:15], v[14:15], v[60:61]
	v_add_f64_e32 v[62:63], v[2:3], v[12:13]
	v_add_f64_e64 v[86:87], v[2:3], -v[12:13]
	v_add_f64_e64 v[2:3], v[28:29], -v[10:11]
	v_add_f64_e32 v[28:29], v[154:155], v[126:127]
	v_add_f64_e64 v[10:11], v[78:79], -v[82:83]
	v_add_f64_e64 v[12:13], v[106:107], -v[72:73]
	s_delay_alu instid0(VALU_DEP_4) | instskip(NEXT) | instid1(VALU_DEP_4)
	v_add_f64_e32 v[66:67], v[0:1], v[2:3]
	v_fma_f64 v[28:29], v[28:29], -0.5, v[130:131]
	v_fma_f64 v[0:1], v[114:115], s[16:17], v[34:35]
	s_delay_alu instid0(VALU_DEP_4) | instskip(NEXT) | instid1(VALU_DEP_3)
	v_add_f64_e32 v[12:13], v[10:11], v[12:13]
	v_fma_f64 v[2:3], v[118:119], s[18:19], v[28:29]
	s_delay_alu instid0(VALU_DEP_3) | instskip(NEXT) | instid1(VALU_DEP_2)
	v_fma_f64 v[0:1], v[112:113], s[12:13], v[0:1]
	v_fma_f64 v[2:3], v[116:117], s[2:3], v[2:3]
	s_delay_alu instid0(VALU_DEP_2) | instskip(NEXT) | instid1(VALU_DEP_2)
	v_fma_f64 v[0:1], v[36:37], s[14:15], v[0:1]
	v_fma_f64 v[2:3], v[14:15], s[14:15], v[2:3]
	s_delay_alu instid0(VALU_DEP_2) | instskip(NEXT) | instid1(VALU_DEP_1)
	v_mul_f64_e32 v[8:9], s[16:17], v[0:1]
	v_fma_f64 v[8:9], v[2:3], s[14:15], v[8:9]
	v_mul_f64_e32 v[2:3], s[18:19], v[2:3]
	s_delay_alu instid0(VALU_DEP_1) | instskip(SKIP_2) | instid1(VALU_DEP_2)
	v_fma_f64 v[10:11], v[0:1], s[14:15], v[2:3]
	v_fma_f64 v[0:1], v[152:153], s[18:19], v[172:173]
	;; [unrolled: 1-line block ×4, first 2 shown]
	s_delay_alu instid0(VALU_DEP_2) | instskip(NEXT) | instid1(VALU_DEP_2)
	v_fma_f64 v[2:3], v[160:161], s[12:13], v[2:3]
	v_fma_f64 v[60:61], v[66:67], s[14:15], v[0:1]
	s_delay_alu instid0(VALU_DEP_2) | instskip(NEXT) | instid1(VALU_DEP_2)
	v_fma_f64 v[72:73], v[12:13], s[14:15], v[2:3]
	v_add_f64_e32 v[0:1], v[60:61], v[8:9]
	v_add_f64_e64 v[8:9], v[60:61], -v[8:9]
	v_fma_f64 v[60:61], v[152:153], s[16:17], v[172:173]
	s_delay_alu instid0(VALU_DEP_4) | instskip(SKIP_2) | instid1(VALU_DEP_4)
	v_add_f64_e32 v[2:3], v[72:73], v[10:11]
	v_add_f64_e64 v[10:11], v[72:73], -v[10:11]
	v_fma_f64 v[72:73], v[112:113], s[16:17], v[96:97]
	v_fma_f64 v[60:61], v[136:137], s[12:13], v[60:61]
	s_delay_alu instid0(VALU_DEP_2) | instskip(NEXT) | instid1(VALU_DEP_2)
	v_fma_f64 v[72:73], v[114:115], s[2:3], v[72:73]
	v_fma_f64 v[60:61], v[66:67], s[14:15], v[60:61]
	;; [unrolled: 1-line block ×3, first 2 shown]
	s_delay_alu instid0(VALU_DEP_1) | instskip(NEXT) | instid1(VALU_DEP_1)
	v_fma_f64 v[66:67], v[160:161], s[2:3], v[66:67]
	v_fma_f64 v[66:67], v[12:13], s[14:15], v[66:67]
	;; [unrolled: 1-line block ×3, first 2 shown]
	s_delay_alu instid0(VALU_DEP_1) | instskip(NEXT) | instid1(VALU_DEP_1)
	v_fma_f64 v[12:13], v[116:117], s[12:13], v[12:13]
	v_fma_f64 v[12:13], v[14:15], s[14:15], v[12:13]
	v_fma_f64 v[14:15], v[114:115], s[18:19], v[34:35]
	s_delay_alu instid0(VALU_DEP_2) | instskip(NEXT) | instid1(VALU_DEP_2)
	v_mul_f64_e32 v[28:29], s[24:25], v[12:13]
	v_fma_f64 v[14:15], v[112:113], s[2:3], v[14:15]
	s_delay_alu instid0(VALU_DEP_1) | instskip(NEXT) | instid1(VALU_DEP_1)
	v_fma_f64 v[14:15], v[36:37], s[14:15], v[14:15]
	v_fma_f64 v[28:29], v[14:15], s[16:17], v[28:29]
	v_mul_f64_e32 v[14:15], s[24:25], v[14:15]
	s_delay_alu instid0(VALU_DEP_2) | instskip(NEXT) | instid1(VALU_DEP_2)
	v_add_f64_e64 v[34:35], v[60:61], -v[28:29]
	v_fma_f64 v[36:37], v[12:13], s[18:19], v[14:15]
	v_add_f64_e32 v[12:13], v[60:61], v[28:29]
	v_fma_f64 v[28:29], v[116:117], s[18:19], v[94:95]
	v_fma_f64 v[60:61], v[136:137], s[18:19], v[100:101]
	s_delay_alu instid0(VALU_DEP_4) | instskip(SKIP_4) | instid1(VALU_DEP_3)
	v_add_f64_e32 v[14:15], v[66:67], v[36:37]
	v_add_f64_e64 v[36:37], v[66:67], -v[36:37]
	v_fma_f64 v[66:67], v[160:161], s[16:17], v[174:175]
	v_fma_f64 v[28:29], v[118:119], s[12:13], v[28:29]
	;; [unrolled: 1-line block ×4, first 2 shown]
	s_delay_alu instid0(VALU_DEP_3) | instskip(NEXT) | instid1(VALU_DEP_3)
	v_fma_f64 v[28:29], v[90:91], s[14:15], v[28:29]
	v_fma_f64 v[42:43], v[42:43], s[14:15], v[60:61]
	s_delay_alu instid0(VALU_DEP_3) | instskip(SKIP_1) | instid1(VALU_DEP_4)
	v_fma_f64 v[60:61], v[84:85], s[14:15], v[66:67]
	v_fma_f64 v[66:67], v[92:93], s[14:15], v[72:73]
	v_mul_f64_e32 v[72:73], s[22:23], v[28:29]
	s_delay_alu instid0(VALU_DEP_1) | instskip(SKIP_1) | instid1(VALU_DEP_2)
	v_fma_f64 v[72:73], v[66:67], s[2:3], v[72:73]
	v_mul_f64_e32 v[66:67], s[22:23], v[66:67]
	v_add_f64_e32 v[78:79], v[42:43], v[72:73]
	s_delay_alu instid0(VALU_DEP_2) | instskip(SKIP_1) | instid1(VALU_DEP_2)
	v_fma_f64 v[28:29], v[28:29], s[12:13], v[66:67]
	v_add_f64_e64 v[90:91], v[42:43], -v[72:73]
	v_add_f64_e32 v[80:81], v[60:61], v[28:29]
	v_add_f64_e64 v[92:93], v[60:61], -v[28:29]
	ds_store_b128 v150, v[120:123]
	ds_store_b128 v150, v[156:159] offset:24000
	ds_store_b128 v150, v[108:111] offset:1600
	;; [unrolled: 1-line block ×29, first 2 shown]
	global_wb scope:SCOPE_SE
	s_wait_storecnt_dscnt 0x0
	s_barrier_signal -1
	s_barrier_wait -1
	global_inv scope:SCOPE_SE
	global_load_b128 v[4:7], v150, s[8:9] offset:48000
	ds_load_b128 v[0:3], v150
	ds_load_b128 v[180:183], v150 offset:46400
	s_add_nc_u64 s[8:9], s[8:9], 0xbb80
	ds_load_b128 v[20:23], v150 offset:14400
	ds_load_b128 v[80:83], v150 offset:16000
	global_load_b128 v[152:155], v150, s[8:9] offset:27200
	ds_load_b128 v[26:29], v150 offset:19200
	ds_load_b128 v[140:143], v150 offset:17600
	;; [unrolled: 1-line block ×24, first 2 shown]
	s_wait_loadcnt_dscnt 0x11b
	v_mul_f64_e32 v[8:9], v[2:3], v[6:7]
	v_mul_f64_e32 v[6:7], v[0:1], v[6:7]
	s_delay_alu instid0(VALU_DEP_2) | instskip(NEXT) | instid1(VALU_DEP_2)
	v_fma_f64 v[0:1], v[0:1], v[4:5], -v[8:9]
	v_fma_f64 v[2:3], v[2:3], v[4:5], v[6:7]
	global_load_b128 v[4:7], v150, s[8:9] offset:4800
	ds_load_b128 v[8:11], v150 offset:4800
	s_wait_loadcnt_dscnt 0x0
	v_mul_f64_e32 v[12:13], v[10:11], v[6:7]
	v_mul_f64_e32 v[14:15], v[8:9], v[6:7]
	s_delay_alu instid0(VALU_DEP_2) | instskip(NEXT) | instid1(VALU_DEP_2)
	v_fma_f64 v[6:7], v[8:9], v[4:5], -v[12:13]
	v_fma_f64 v[8:9], v[10:11], v[4:5], v[14:15]
	global_load_b128 v[10:13], v150, s[8:9] offset:9600
	ds_load_b128 v[14:17], v150 offset:9600
	s_wait_loadcnt_dscnt 0x0
	v_mul_f64_e32 v[4:5], v[16:17], v[12:13]
	v_mul_f64_e32 v[18:19], v[14:15], v[12:13]
	s_delay_alu instid0(VALU_DEP_2) | instskip(NEXT) | instid1(VALU_DEP_2)
	v_fma_f64 v[12:13], v[14:15], v[10:11], -v[4:5]
	v_fma_f64 v[14:15], v[16:17], v[10:11], v[18:19]
	global_load_b128 v[16:19], v150, s[8:9] offset:14400
	s_wait_loadcnt 0x0
	v_mul_f64_e32 v[4:5], v[22:23], v[18:19]
	v_mul_f64_e32 v[10:11], v[20:21], v[18:19]
	s_delay_alu instid0(VALU_DEP_2) | instskip(NEXT) | instid1(VALU_DEP_2)
	v_fma_f64 v[18:19], v[20:21], v[16:17], -v[4:5]
	v_fma_f64 v[20:21], v[22:23], v[16:17], v[10:11]
	global_load_b128 v[22:25], v150, s[8:9] offset:19200
	s_wait_loadcnt 0x0
	;; [unrolled: 7-line block ×22, first 2 shown]
	v_mul_f64_e32 v[4:5], v[148:149], v[144:145]
	v_mul_f64_e32 v[10:11], v[146:147], v[144:145]
	s_delay_alu instid0(VALU_DEP_2) | instskip(NEXT) | instid1(VALU_DEP_2)
	v_fma_f64 v[144:145], v[146:147], v[142:143], -v[4:5]
	v_fma_f64 v[146:147], v[148:149], v[142:143], v[10:11]
	v_mul_f64_e32 v[4:5], v[166:167], v[154:155]
	v_mul_f64_e32 v[10:11], v[164:165], v[154:155]
	s_delay_alu instid0(VALU_DEP_2) | instskip(NEXT) | instid1(VALU_DEP_2)
	v_fma_f64 v[164:165], v[164:165], v[152:153], -v[4:5]
	v_fma_f64 v[166:167], v[166:167], v[152:153], v[10:11]
	global_load_b128 v[152:155], v150, s[8:9] offset:32000
	s_wait_loadcnt 0x0
	v_mul_f64_e32 v[4:5], v[170:171], v[154:155]
	v_mul_f64_e32 v[10:11], v[168:169], v[154:155]
	s_delay_alu instid0(VALU_DEP_2) | instskip(NEXT) | instid1(VALU_DEP_2)
	v_fma_f64 v[168:169], v[168:169], v[152:153], -v[4:5]
	v_fma_f64 v[170:171], v[170:171], v[152:153], v[10:11]
	global_load_b128 v[152:155], v150, s[8:9] offset:36800
	s_wait_loadcnt 0x0
	;; [unrolled: 7-line block ×4, first 2 shown]
	v_mul_f64_e32 v[4:5], v[182:183], v[154:155]
	v_mul_f64_e32 v[10:11], v[180:181], v[154:155]
	s_delay_alu instid0(VALU_DEP_2) | instskip(NEXT) | instid1(VALU_DEP_2)
	v_fma_f64 v[180:181], v[180:181], v[152:153], -v[4:5]
	v_fma_f64 v[182:183], v[182:183], v[152:153], v[10:11]
	ds_store_b128 v150, v[0:3]
	ds_store_b128 v150, v[6:9] offset:4800
	ds_store_b128 v150, v[12:15] offset:9600
	;; [unrolled: 1-line block ×29, first 2 shown]
	global_wb scope:SCOPE_SE
	s_wait_dscnt 0x0
	s_barrier_signal -1
	s_barrier_wait -1
	global_inv scope:SCOPE_SE
	ds_load_b128 v[0:3], v150
	ds_load_b128 v[4:7], v150 offset:9600
	ds_load_b128 v[8:11], v150 offset:19200
	s_wait_dscnt 0x1
	v_add_f64_e32 v[12:13], v[0:1], v[4:5]
	s_wait_dscnt 0x0
	v_add_f64_e64 v[24:25], v[4:5], -v[8:9]
	v_add_f64_e64 v[26:27], v[8:9], -v[4:5]
	;; [unrolled: 1-line block ×4, first 2 shown]
	v_add_f64_e32 v[16:17], v[12:13], v[8:9]
	v_add_f64_e32 v[12:13], v[2:3], v[6:7]
	s_delay_alu instid0(VALU_DEP_1)
	v_add_f64_e32 v[18:19], v[12:13], v[10:11]
	ds_load_b128 v[12:15], v150 offset:28800
	s_wait_dscnt 0x0
	v_add_f64_e32 v[20:21], v[8:9], v[12:13]
	v_add_f64_e64 v[22:23], v[10:11], -v[14:15]
	v_add_f64_e32 v[28:29], v[10:11], v[14:15]
	v_add_f64_e64 v[30:31], v[8:9], -v[12:13]
	ds_load_b128 v[8:11], v150 offset:38400
	s_wait_dscnt 0x0
	v_add_f64_e64 v[36:37], v[6:7], -v[10:11]
	v_add_f64_e32 v[38:39], v[4:5], v[8:9]
	v_add_f64_e64 v[72:73], v[4:5], -v[8:9]
	v_add_f64_e32 v[40:41], v[6:7], v[10:11]
	v_add_f64_e32 v[4:5], v[16:17], v[12:13]
	;; [unrolled: 1-line block ×3, first 2 shown]
	v_add_f64_e64 v[42:43], v[8:9], -v[12:13]
	v_add_f64_e64 v[56:57], v[12:13], -v[8:9]
	v_add_f64_e64 v[44:45], v[10:11], -v[14:15]
	v_add_f64_e64 v[58:59], v[14:15], -v[10:11]
	v_fma_f64 v[20:21], v[20:21], -0.5, v[0:1]
	v_fma_f64 v[28:29], v[28:29], -0.5, v[2:3]
	;; [unrolled: 1-line block ×4, first 2 shown]
	v_add_f64_e32 v[46:47], v[4:5], v[8:9]
	v_add_f64_e32 v[50:51], v[6:7], v[10:11]
	ds_load_b128 v[4:7], v150 offset:14400
	ds_load_b128 v[8:11], v150 offset:4800
	;; [unrolled: 1-line block ×3, first 2 shown]
	v_add_f64_e32 v[26:27], v[26:27], v[56:57]
	s_wait_dscnt 0x1
	v_add_f64_e32 v[16:17], v[8:9], v[4:5]
	s_wait_dscnt 0x0
	v_add_f64_e64 v[60:61], v[4:5], -v[12:13]
	v_add_f64_e64 v[62:63], v[12:13], -v[4:5]
	;; [unrolled: 1-line block ×4, first 2 shown]
	v_add_f64_e32 v[48:49], v[16:17], v[12:13]
	v_add_f64_e32 v[16:17], v[10:11], v[6:7]
	s_delay_alu instid0(VALU_DEP_1)
	v_add_f64_e32 v[52:53], v[16:17], v[14:15]
	ds_load_b128 v[16:19], v150 offset:33600
	s_wait_dscnt 0x0
	v_add_f64_e32 v[64:65], v[14:15], v[18:19]
	v_add_f64_e32 v[48:49], v[48:49], v[16:17]
	;; [unrolled: 1-line block ×3, first 2 shown]
	v_add_f64_e64 v[74:75], v[14:15], -v[18:19]
	v_add_f64_e64 v[76:77], v[12:13], -v[16:17]
	ds_load_b128 v[12:15], v150 offset:43200
	v_add_f64_e32 v[52:53], v[52:53], v[18:19]
	s_wait_dscnt 0x0
	v_add_f64_e32 v[70:71], v[4:5], v[12:13]
	v_add_f64_e64 v[4:5], v[4:5], -v[12:13]
	v_add_f64_e64 v[80:81], v[12:13], -v[16:17]
	;; [unrolled: 1-line block ×4, first 2 shown]
	v_add_f64_e32 v[6:7], v[6:7], v[14:15]
	v_add_f64_e64 v[82:83], v[14:15], -v[18:19]
	v_add_f64_e64 v[18:19], v[18:19], -v[14:15]
	v_fma_f64 v[38:39], v[64:65], -0.5, v[10:11]
	v_add_f64_e32 v[12:13], v[48:49], v[12:13]
	v_fma_f64 v[84:85], v[54:55], -0.5, v[8:9]
	v_add_f64_e32 v[14:15], v[52:53], v[14:15]
	v_fma_f64 v[8:9], v[70:71], -0.5, v[8:9]
	v_add_f64_e32 v[16:17], v[62:63], v[16:17]
	v_fma_f64 v[6:7], v[6:7], -0.5, v[10:11]
	v_add_f64_e32 v[10:11], v[24:25], v[42:43]
	v_add_f64_e32 v[24:25], v[66:67], v[82:83]
	v_add_f64_e32 v[18:19], v[68:69], v[18:19]
	;; [unrolled: 1-line block ×3, first 2 shown]
	v_add_f64_e64 v[48:49], v[46:47], -v[12:13]
	v_add_f64_e32 v[12:13], v[32:33], v[44:45]
	v_fma_f64 v[32:33], v[4:5], s[16:17], v[38:39]
	v_fma_f64 v[40:41], v[78:79], s[18:19], v[84:85]
	v_add_f64_e32 v[54:55], v[50:51], v[14:15]
	v_add_f64_e64 v[50:51], v[50:51], -v[14:15]
	v_add_f64_e32 v[14:15], v[60:61], v[80:81]
	v_fma_f64 v[56:57], v[74:75], s[16:17], v[8:9]
	v_fma_f64 v[8:9], v[74:75], s[18:19], v[8:9]
	;; [unrolled: 1-line block ×4, first 2 shown]
	s_delay_alu instid0(VALU_DEP_4) | instskip(NEXT) | instid1(VALU_DEP_4)
	v_fma_f64 v[56:57], v[78:79], s[12:13], v[56:57]
	v_fma_f64 v[8:9], v[78:79], s[2:3], v[8:9]
	s_delay_alu instid0(VALU_DEP_4) | instskip(NEXT) | instid1(VALU_DEP_4)
	v_fma_f64 v[32:33], v[24:25], s[14:15], v[32:33]
	v_fma_f64 v[40:41], v[14:15], s[14:15], v[40:41]
	;; [unrolled: 3-line block ×3, first 2 shown]
	s_delay_alu instid0(VALU_DEP_4) | instskip(NEXT) | instid1(VALU_DEP_1)
	v_mul_f64_e32 v[42:43], s[12:13], v[32:33]
	v_fma_f64 v[44:45], v[40:41], s[20:21], v[42:43]
	v_mul_f64_e32 v[40:41], s[2:3], v[40:41]
	v_fma_f64 v[42:43], v[72:73], s[16:17], v[28:29]
	s_delay_alu instid0(VALU_DEP_2) | instskip(SKIP_1) | instid1(VALU_DEP_3)
	v_fma_f64 v[32:33], v[32:33], s[20:21], v[40:41]
	v_fma_f64 v[40:41], v[36:37], s[18:19], v[20:21]
	;; [unrolled: 1-line block ×3, first 2 shown]
	s_delay_alu instid0(VALU_DEP_2) | instskip(NEXT) | instid1(VALU_DEP_2)
	v_fma_f64 v[40:41], v[22:23], s[12:13], v[40:41]
	v_fma_f64 v[60:61], v[12:13], s[14:15], v[42:43]
	s_delay_alu instid0(VALU_DEP_2) | instskip(NEXT) | instid1(VALU_DEP_2)
	v_fma_f64 v[46:47], v[10:11], s[14:15], v[40:41]
	v_add_f64_e32 v[42:43], v[60:61], v[32:33]
	s_delay_alu instid0(VALU_DEP_2)
	v_add_f64_e32 v[40:41], v[46:47], v[44:45]
	v_add_f64_e64 v[44:45], v[46:47], -v[44:45]
	v_add_f64_e64 v[46:47], v[60:61], -v[32:33]
	v_add_f64_e32 v[32:33], v[34:35], v[58:59]
	v_fma_f64 v[34:35], v[76:77], s[18:19], v[6:7]
	v_fma_f64 v[6:7], v[76:77], s[16:17], v[6:7]
	s_delay_alu instid0(VALU_DEP_2) | instskip(NEXT) | instid1(VALU_DEP_2)
	v_fma_f64 v[34:35], v[4:5], s[2:3], v[34:35]
	v_fma_f64 v[6:7], v[4:5], s[12:13], v[6:7]
	s_delay_alu instid0(VALU_DEP_2) | instskip(NEXT) | instid1(VALU_DEP_2)
	v_fma_f64 v[34:35], v[18:19], s[14:15], v[34:35]
	v_fma_f64 v[6:7], v[18:19], s[14:15], v[6:7]
	s_delay_alu instid0(VALU_DEP_2) | instskip(SKIP_1) | instid1(VALU_DEP_3)
	v_mul_f64_e32 v[58:59], s[18:19], v[34:35]
	v_mul_f64_e32 v[34:35], s[14:15], v[34:35]
	;; [unrolled: 1-line block ×4, first 2 shown]
	s_delay_alu instid0(VALU_DEP_4) | instskip(NEXT) | instid1(VALU_DEP_4)
	v_fma_f64 v[60:61], v[56:57], s[14:15], v[58:59]
	v_fma_f64 v[34:35], v[56:57], s[16:17], v[34:35]
	;; [unrolled: 1-line block ×12, first 2 shown]
	s_delay_alu instid0(VALU_DEP_4) | instskip(NEXT) | instid1(VALU_DEP_4)
	v_fma_f64 v[62:63], v[26:27], s[14:15], v[56:57]
	v_fma_f64 v[64:65], v[32:33], s[14:15], v[58:59]
	s_delay_alu instid0(VALU_DEP_4) | instskip(NEXT) | instid1(VALU_DEP_4)
	v_fma_f64 v[0:1], v[26:27], s[14:15], v[0:1]
	v_fma_f64 v[2:3], v[32:33], s[14:15], v[2:3]
	s_delay_alu instid0(VALU_DEP_4) | instskip(NEXT) | instid1(VALU_DEP_4)
	v_add_f64_e32 v[56:57], v[62:63], v[60:61]
	v_add_f64_e32 v[58:59], v[64:65], v[34:35]
	v_add_f64_e64 v[60:61], v[62:63], -v[60:61]
	v_add_f64_e64 v[62:63], v[64:65], -v[34:35]
	v_add_f64_e32 v[64:65], v[0:1], v[16:17]
	v_add_f64_e64 v[68:69], v[0:1], -v[16:17]
	v_fma_f64 v[0:1], v[4:5], s[18:19], v[38:39]
	v_add_f64_e32 v[66:67], v[2:3], v[6:7]
	v_add_f64_e64 v[70:71], v[2:3], -v[6:7]
	v_fma_f64 v[6:7], v[78:79], s[16:17], v[84:85]
	v_fma_f64 v[2:3], v[36:37], s[16:17], v[20:21]
	v_fma_f64 v[4:5], v[72:73], s[18:19], v[28:29]
	v_fma_f64 v[0:1], v[76:77], s[12:13], v[0:1]
	s_delay_alu instid0(VALU_DEP_4) | instskip(NEXT) | instid1(VALU_DEP_4)
	v_fma_f64 v[6:7], v[74:75], s[2:3], v[6:7]
	v_fma_f64 v[2:3], v[22:23], s[2:3], v[2:3]
	s_delay_alu instid0(VALU_DEP_4) | instskip(NEXT) | instid1(VALU_DEP_4)
	v_fma_f64 v[4:5], v[30:31], s[12:13], v[4:5]
	v_fma_f64 v[0:1], v[24:25], s[14:15], v[0:1]
	;; [unrolled: 3-line block ×3, first 2 shown]
	s_delay_alu instid0(VALU_DEP_4) | instskip(NEXT) | instid1(VALU_DEP_4)
	v_fma_f64 v[4:5], v[12:13], s[14:15], v[4:5]
	v_mul_f64_e32 v[8:9], s[12:13], v[0:1]
	v_mul_f64_e32 v[0:1], s[22:23], v[0:1]
	s_delay_alu instid0(VALU_DEP_2) | instskip(NEXT) | instid1(VALU_DEP_2)
	v_fma_f64 v[8:9], v[6:7], s[22:23], v[8:9]
	v_fma_f64 v[0:1], v[6:7], s[2:3], v[0:1]
	s_delay_alu instid0(VALU_DEP_2) | instskip(NEXT) | instid1(VALU_DEP_2)
	v_add_f64_e32 v[72:73], v[2:3], v[8:9]
	v_add_f64_e32 v[74:75], v[4:5], v[0:1]
	v_add_f64_e64 v[76:77], v[2:3], -v[8:9]
	v_add_f64_e64 v[78:79], v[4:5], -v[0:1]
	ds_load_b128 v[36:39], v150 offset:8000
	ds_load_b128 v[28:31], v150 offset:46400
	;; [unrolled: 1-line block ×20, first 2 shown]
	global_wb scope:SCOPE_SE
	s_wait_dscnt 0x0
	s_barrier_signal -1
	s_barrier_wait -1
	global_inv scope:SCOPE_SE
	ds_store_b128 v248, v[52:55]
	ds_store_b128 v248, v[48:51] offset:80
	ds_store_b128 v248, v[40:43] offset:16
	;; [unrolled: 1-line block ×9, first 2 shown]
	v_add_f64_e32 v[40:41], v[100:101], v[104:105]
	v_add_f64_e32 v[42:43], v[102:103], v[106:107]
	;; [unrolled: 1-line block ×3, first 2 shown]
	v_add_f64_e64 v[74:75], v[108:109], -v[112:113]
	v_add_f64_e64 v[60:61], v[116:117], -v[112:113]
	v_add_f64_e64 v[62:63], v[112:113], -v[116:117]
	v_add_f64_e64 v[72:73], v[110:111], -v[114:115]
	v_add_f64_e64 v[48:49], v[104:105], -v[108:109]
	v_add_f64_e64 v[56:57], v[108:109], -v[104:105]
	v_add_f64_e32 v[46:47], v[110:111], v[114:115]
	v_add_f64_e64 v[50:51], v[106:107], -v[110:111]
	v_add_f64_e64 v[58:59], v[110:111], -v[106:107]
	;; [unrolled: 1-line block ×3, first 2 shown]
	v_add_f64_e32 v[52:53], v[104:105], v[116:117]
	v_add_f64_e64 v[78:79], v[104:105], -v[116:117]
	v_add_f64_e32 v[54:55], v[106:107], v[118:119]
	v_add_f64_e64 v[64:65], v[118:119], -v[114:115]
	v_add_f64_e64 v[66:67], v[114:115], -v[118:119]
	v_add_f64_e32 v[104:105], v[88:89], v[92:93]
	v_add_f64_e64 v[106:107], v[90:91], -v[94:95]
	v_add_f64_e64 v[120:121], v[96:97], -v[92:93]
	;; [unrolled: 1-line block ×3, first 2 shown]
	v_add_f64_e32 v[40:41], v[40:41], v[108:109]
	v_add_f64_e32 v[42:43], v[42:43], v[110:111]
	v_add_f64_e64 v[108:109], v[84:85], -v[88:89]
	v_add_f64_e64 v[110:111], v[88:89], -v[84:85]
	v_fma_f64 v[124:125], v[44:45], -0.5, v[100:101]
	v_fma_f64 v[126:127], v[46:47], -0.5, v[102:103]
	;; [unrolled: 1-line block ×4, first 2 shown]
	v_add_f64_e32 v[66:67], v[58:59], v[66:67]
	v_fma_f64 v[104:105], v[104:105], -0.5, v[80:81]
	v_add_f64_e32 v[40:41], v[40:41], v[112:113]
	v_add_f64_e32 v[42:43], v[42:43], v[114:115]
	;; [unrolled: 1-line block ×3, first 2 shown]
	v_add_f64_e64 v[114:115], v[86:87], -v[90:91]
	s_delay_alu instid0(VALU_DEP_4) | instskip(NEXT) | instid1(VALU_DEP_4)
	v_add_f64_e32 v[68:69], v[40:41], v[116:117]
	v_add_f64_e32 v[70:71], v[42:43], v[118:119]
	;; [unrolled: 1-line block ×4, first 2 shown]
	v_add_f64_e64 v[116:117], v[86:87], -v[98:99]
	v_add_f64_e32 v[118:119], v[84:85], v[96:97]
	v_add_f64_e64 v[84:85], v[84:85], -v[96:97]
	v_fma_f64 v[112:113], v[112:113], -0.5, v[82:83]
	v_add_f64_e32 v[40:41], v[40:41], v[88:89]
	v_add_f64_e32 v[42:43], v[42:43], v[90:91]
	v_add_f64_e64 v[90:91], v[90:91], -v[86:87]
	v_add_f64_e32 v[86:87], v[86:87], v[98:99]
	v_add_f64_e64 v[88:89], v[88:89], -v[92:93]
	v_fma_f64 v[80:81], v[118:119], -0.5, v[80:81]
	v_add_f64_e32 v[40:41], v[40:41], v[92:93]
	v_add_f64_e32 v[42:43], v[42:43], v[94:95]
	v_add_f64_e64 v[92:93], v[92:93], -v[96:97]
	v_add_f64_e64 v[94:95], v[94:95], -v[98:99]
	v_fma_f64 v[82:83], v[86:87], -0.5, v[82:83]
	v_add_f64_e32 v[86:87], v[48:49], v[60:61]
	v_fma_f64 v[48:49], v[84:85], s[16:17], v[112:113]
	v_fma_f64 v[58:59], v[106:107], s[16:17], v[80:81]
	v_add_f64_e32 v[96:97], v[40:41], v[96:97]
	v_add_f64_e32 v[98:99], v[42:43], v[98:99]
	s_delay_alu instid0(VALU_DEP_4) | instskip(NEXT) | instid1(VALU_DEP_4)
	v_fma_f64 v[48:49], v[88:89], s[2:3], v[48:49]
	v_fma_f64 v[58:59], v[116:117], s[12:13], v[58:59]
	s_delay_alu instid0(VALU_DEP_4) | instskip(NEXT) | instid1(VALU_DEP_4)
	v_add_f64_e32 v[40:41], v[68:69], v[96:97]
	v_add_f64_e32 v[42:43], v[70:71], v[98:99]
	v_add_f64_e64 v[44:45], v[68:69], -v[96:97]
	v_add_f64_e64 v[46:47], v[70:71], -v[98:99]
	v_add_f64_e32 v[96:97], v[50:51], v[64:65]
	v_add_f64_e32 v[98:99], v[108:109], v[120:121]
	;; [unrolled: 1-line block ×3, first 2 shown]
	v_fma_f64 v[50:51], v[116:117], s[18:19], v[104:105]
	v_add_f64_e32 v[70:71], v[90:91], v[94:95]
	v_add_f64_e32 v[68:69], v[110:111], v[92:93]
	s_delay_alu instid0(VALU_DEP_4) | instskip(NEXT) | instid1(VALU_DEP_4)
	v_fma_f64 v[48:49], v[108:109], s[14:15], v[48:49]
	v_fma_f64 v[50:51], v[106:107], s[12:13], v[50:51]
	s_delay_alu instid0(VALU_DEP_3) | instskip(NEXT) | instid1(VALU_DEP_3)
	v_fma_f64 v[58:59], v[68:69], s[14:15], v[58:59]
	v_mul_f64_e32 v[52:53], s[12:13], v[48:49]
	s_delay_alu instid0(VALU_DEP_3) | instskip(NEXT) | instid1(VALU_DEP_1)
	v_fma_f64 v[50:51], v[98:99], s[14:15], v[50:51]
	v_fma_f64 v[52:53], v[50:51], s[20:21], v[52:53]
	v_mul_f64_e32 v[50:51], s[2:3], v[50:51]
	s_delay_alu instid0(VALU_DEP_1) | instskip(SKIP_2) | instid1(VALU_DEP_2)
	v_fma_f64 v[54:55], v[48:49], s[20:21], v[50:51]
	v_fma_f64 v[50:51], v[78:79], s[16:17], v[126:127]
	;; [unrolled: 1-line block ×4, first 2 shown]
	s_delay_alu instid0(VALU_DEP_2) | instskip(NEXT) | instid1(VALU_DEP_2)
	v_fma_f64 v[48:49], v[72:73], s[12:13], v[48:49]
	v_fma_f64 v[64:65], v[96:97], s[14:15], v[50:51]
	s_delay_alu instid0(VALU_DEP_2) | instskip(NEXT) | instid1(VALU_DEP_2)
	v_fma_f64 v[60:61], v[86:87], s[14:15], v[48:49]
	v_add_f64_e32 v[50:51], v[64:65], v[54:55]
	v_add_f64_e64 v[54:55], v[64:65], -v[54:55]
	v_add_f64_e32 v[64:65], v[56:57], v[62:63]
	v_fma_f64 v[56:57], v[88:89], s[18:19], v[82:83]
	v_add_f64_e32 v[48:49], v[60:61], v[52:53]
	v_add_f64_e64 v[52:53], v[60:61], -v[52:53]
	s_delay_alu instid0(VALU_DEP_3) | instskip(NEXT) | instid1(VALU_DEP_1)
	v_fma_f64 v[56:57], v[84:85], s[2:3], v[56:57]
	v_fma_f64 v[56:57], v[70:71], s[14:15], v[56:57]
	s_delay_alu instid0(VALU_DEP_1) | instskip(SKIP_1) | instid1(VALU_DEP_2)
	v_mul_f64_e32 v[60:61], s[18:19], v[56:57]
	v_mul_f64_e32 v[56:57], s[14:15], v[56:57]
	v_fma_f64 v[60:61], v[58:59], s[14:15], v[60:61]
	s_delay_alu instid0(VALU_DEP_2) | instskip(SKIP_2) | instid1(VALU_DEP_2)
	v_fma_f64 v[62:63], v[58:59], s[16:17], v[56:57]
	v_fma_f64 v[56:57], v[72:73], s[16:17], v[100:101]
	;; [unrolled: 1-line block ×4, first 2 shown]
	s_delay_alu instid0(VALU_DEP_2) | instskip(NEXT) | instid1(VALU_DEP_2)
	v_fma_f64 v[58:59], v[78:79], s[2:3], v[58:59]
	v_fma_f64 v[90:91], v[64:65], s[14:15], v[56:57]
	s_delay_alu instid0(VALU_DEP_2) | instskip(NEXT) | instid1(VALU_DEP_2)
	v_fma_f64 v[92:93], v[66:67], s[14:15], v[58:59]
	v_add_f64_e32 v[56:57], v[90:91], v[60:61]
	v_add_f64_e64 v[60:61], v[90:91], -v[60:61]
	v_fma_f64 v[90:91], v[72:73], s[18:19], v[100:101]
	s_delay_alu instid0(VALU_DEP_4) | instskip(SKIP_1) | instid1(VALU_DEP_3)
	v_add_f64_e32 v[58:59], v[92:93], v[62:63]
	v_add_f64_e64 v[62:63], v[92:93], -v[62:63]
	v_fma_f64 v[90:91], v[76:77], s[2:3], v[90:91]
	v_fma_f64 v[76:77], v[76:77], s[16:17], v[124:125]
	s_delay_alu instid0(VALU_DEP_2) | instskip(SKIP_1) | instid1(VALU_DEP_3)
	v_fma_f64 v[90:91], v[64:65], s[14:15], v[90:91]
	v_fma_f64 v[64:65], v[74:75], s[16:17], v[102:103]
	;; [unrolled: 1-line block ×3, first 2 shown]
	s_delay_alu instid0(VALU_DEP_2) | instskip(SKIP_1) | instid1(VALU_DEP_2)
	v_fma_f64 v[64:65], v[78:79], s[12:13], v[64:65]
	v_fma_f64 v[78:79], v[78:79], s[18:19], v[126:127]
	;; [unrolled: 1-line block ×18, first 2 shown]
	v_mul_f64_e32 v[68:69], s[18:19], v[64:65]
	v_mul_f64_e32 v[64:65], s[24:25], v[64:65]
	;; [unrolled: 1-line block ×4, first 2 shown]
	s_delay_alu instid0(VALU_DEP_4) | instskip(NEXT) | instid1(VALU_DEP_4)
	v_fma_f64 v[68:69], v[66:67], s[24:25], v[68:69]
	v_fma_f64 v[70:71], v[66:67], s[16:17], v[64:65]
	s_delay_alu instid0(VALU_DEP_4) | instskip(NEXT) | instid1(VALU_DEP_4)
	v_fma_f64 v[78:79], v[72:73], s[22:23], v[74:75]
	v_fma_f64 v[84:85], v[72:73], s[2:3], v[76:77]
	s_delay_alu instid0(VALU_DEP_4) | instskip(NEXT) | instid1(VALU_DEP_4)
	v_add_f64_e32 v[64:65], v[90:91], v[68:69]
	v_add_f64_e32 v[66:67], v[92:93], v[70:71]
	s_delay_alu instid0(VALU_DEP_4) | instskip(NEXT) | instid1(VALU_DEP_4)
	v_add_f64_e32 v[72:73], v[80:81], v[78:79]
	v_add_f64_e32 v[74:75], v[82:83], v[84:85]
	v_add_f64_e64 v[68:69], v[90:91], -v[68:69]
	v_add_f64_e64 v[70:71], v[92:93], -v[70:71]
	;; [unrolled: 1-line block ×4, first 2 shown]
	ds_store_b128 v251, v[40:43]
	ds_store_b128 v251, v[48:51] offset:16
	ds_store_b128 v251, v[56:59] offset:32
	;; [unrolled: 1-line block ×9, first 2 shown]
	v_add_f64_e32 v[40:41], v[32:33], v[4:5]
	v_add_f64_e32 v[42:43], v[34:35], v[6:7]
	v_add_f64_e32 v[44:45], v[0:1], v[8:9]
	v_add_f64_e64 v[48:49], v[4:5], -v[0:1]
	v_add_f64_e64 v[50:51], v[0:1], -v[4:5]
	;; [unrolled: 1-line block ×5, first 2 shown]
	v_add_f64_e32 v[52:53], v[2:3], v[10:11]
	v_add_f64_e64 v[56:57], v[6:7], -v[2:3]
	v_add_f64_e64 v[58:59], v[2:3], -v[6:7]
	;; [unrolled: 1-line block ×4, first 2 shown]
	v_add_f64_e32 v[72:73], v[18:19], v[26:27]
	v_add_f64_e64 v[66:67], v[18:19], -v[26:27]
	v_add_f64_e64 v[68:69], v[20:21], -v[16:17]
	;; [unrolled: 1-line block ×5, first 2 shown]
	v_add_f64_e32 v[78:79], v[20:21], v[28:29]
	v_add_f64_e64 v[80:81], v[20:21], -v[28:29]
	v_add_f64_e64 v[82:83], v[30:31], -v[26:27]
	v_add_f64_e32 v[40:41], v[40:41], v[0:1]
	v_add_f64_e32 v[42:43], v[42:43], v[2:3]
	;; [unrolled: 1-line block ×4, first 2 shown]
	v_fma_f64 v[44:45], v[44:45], -0.5, v[32:33]
	v_add_f64_e32 v[4:5], v[40:41], v[8:9]
	v_add_f64_e32 v[6:7], v[42:43], v[10:11]
	v_add_f64_e64 v[40:41], v[12:13], -v[8:9]
	v_add_f64_e64 v[42:43], v[8:9], -v[12:13]
	;; [unrolled: 1-line block ×3, first 2 shown]
	v_add_f64_e32 v[10:11], v[36:37], v[20:21]
	v_add_f64_e32 v[20:21], v[22:23], v[30:31]
	;; [unrolled: 1-line block ×8, first 2 shown]
	v_add_f64_e64 v[16:17], v[22:23], -v[18:19]
	v_add_f64_e32 v[48:49], v[56:57], v[8:9]
	v_add_f64_e32 v[42:43], v[50:51], v[42:43]
	;; [unrolled: 1-line block ×4, first 2 shown]
	v_add_f64_e64 v[18:19], v[18:19], -v[22:23]
	v_add_f64_e64 v[22:23], v[28:29], -v[24:25]
	v_add_f64_e32 v[10:11], v[10:11], v[24:25]
	v_add_f64_e64 v[24:25], v[24:25], -v[28:29]
	v_add_f64_e32 v[12:13], v[12:13], v[26:27]
	v_add_f64_e64 v[26:27], v[26:27], -v[30:31]
	v_add_f64_e32 v[56:57], v[68:69], v[22:23]
	v_add_f64_e32 v[68:69], v[16:17], v[82:83]
	v_add_f64_e32 v[10:11], v[10:11], v[28:29]
	v_fma_f64 v[28:29], v[0:1], -0.5, v[32:33]
	v_fma_f64 v[32:33], v[52:53], -0.5, v[34:35]
	;; [unrolled: 1-line block ×4, first 2 shown]
	v_add_f64_e32 v[24:25], v[70:71], v[24:25]
	v_add_f64_e32 v[12:13], v[12:13], v[30:31]
	v_fma_f64 v[30:31], v[2:3], -0.5, v[34:35]
	v_fma_f64 v[34:35], v[72:73], -0.5, v[38:39]
	;; [unrolled: 1-line block ×3, first 2 shown]
	v_add_f64_e32 v[0:1], v[4:5], v[10:11]
	v_add_f64_e64 v[4:5], v[4:5], -v[10:11]
	v_add_f64_e32 v[26:27], v[18:19], v[26:27]
	v_fma_f64 v[10:11], v[76:77], s[18:19], v[52:53]
	v_fma_f64 v[18:19], v[66:67], s[16:17], v[36:37]
	;; [unrolled: 1-line block ×3, first 2 shown]
	v_add_f64_e32 v[2:3], v[6:7], v[12:13]
	v_add_f64_e64 v[6:7], v[6:7], -v[12:13]
	v_fma_f64 v[8:9], v[80:81], s[16:17], v[34:35]
	v_fma_f64 v[34:35], v[80:81], s[18:19], v[34:35]
	;; [unrolled: 1-line block ×12, first 2 shown]
	s_delay_alu instid0(VALU_DEP_2) | instskip(NEXT) | instid1(VALU_DEP_1)
	v_mul_f64_e32 v[12:13], s[12:13], v[8:9]
	v_fma_f64 v[12:13], v[10:11], s[20:21], v[12:13]
	v_mul_f64_e32 v[10:11], s[2:3], v[10:11]
	s_delay_alu instid0(VALU_DEP_1) | instskip(SKIP_3) | instid1(VALU_DEP_3)
	v_fma_f64 v[14:15], v[8:9], s[20:21], v[10:11]
	v_fma_f64 v[8:9], v[60:61], s[18:19], v[44:45]
	;; [unrolled: 1-line block ×5, first 2 shown]
	s_delay_alu instid0(VALU_DEP_3) | instskip(NEXT) | instid1(VALU_DEP_3)
	v_fma_f64 v[10:11], v[54:55], s[2:3], v[10:11]
	v_fma_f64 v[32:33], v[54:55], s[12:13], v[32:33]
	s_delay_alu instid0(VALU_DEP_3) | instskip(NEXT) | instid1(VALU_DEP_3)
	v_fma_f64 v[16:17], v[40:41], s[14:15], v[8:9]
	v_fma_f64 v[20:21], v[48:49], s[14:15], v[10:11]
	s_delay_alu instid0(VALU_DEP_2)
	v_add_f64_e32 v[8:9], v[16:17], v[12:13]
	v_add_f64_e64 v[12:13], v[16:17], -v[12:13]
	v_fma_f64 v[16:17], v[74:75], s[18:19], v[38:39]
	v_fma_f64 v[38:39], v[74:75], s[16:17], v[38:39]
	v_add_f64_e32 v[10:11], v[20:21], v[14:15]
	v_add_f64_e64 v[14:15], v[20:21], -v[14:15]
	s_delay_alu instid0(VALU_DEP_4) | instskip(NEXT) | instid1(VALU_DEP_4)
	v_fma_f64 v[16:17], v[80:81], s[2:3], v[16:17]
	v_fma_f64 v[38:39], v[80:81], s[12:13], v[38:39]
	s_delay_alu instid0(VALU_DEP_2) | instskip(NEXT) | instid1(VALU_DEP_2)
	v_fma_f64 v[16:17], v[26:27], s[14:15], v[16:17]
	v_fma_f64 v[26:27], v[26:27], s[14:15], v[38:39]
	s_delay_alu instid0(VALU_DEP_2) | instskip(SKIP_1) | instid1(VALU_DEP_3)
	v_mul_f64_e32 v[20:21], s[18:19], v[16:17]
	v_mul_f64_e32 v[16:17], s[14:15], v[16:17]
	;; [unrolled: 1-line block ×4, first 2 shown]
	s_delay_alu instid0(VALU_DEP_4) | instskip(NEXT) | instid1(VALU_DEP_4)
	v_fma_f64 v[20:21], v[18:19], s[14:15], v[20:21]
	v_fma_f64 v[22:23], v[18:19], s[16:17], v[16:17]
	v_fma_f64 v[16:17], v[46:47], s[16:17], v[28:29]
	v_fma_f64 v[18:19], v[54:55], s[18:19], v[30:31]
	v_fma_f64 v[28:29], v[46:47], s[18:19], v[28:29]
	v_fma_f64 v[30:31], v[54:55], s[16:17], v[30:31]
	v_fma_f64 v[36:37], v[24:25], s[24:25], v[36:37]
	v_fma_f64 v[38:39], v[24:25], s[16:17], v[26:27]
	v_fma_f64 v[16:17], v[60:61], s[12:13], v[16:17]
	v_fma_f64 v[18:19], v[62:63], s[2:3], v[18:19]
	v_fma_f64 v[28:29], v[60:61], s[2:3], v[28:29]
	v_fma_f64 v[30:31], v[62:63], s[12:13], v[30:31]
	s_delay_alu instid0(VALU_DEP_4) | instskip(NEXT) | instid1(VALU_DEP_4)
	v_fma_f64 v[58:59], v[42:43], s[14:15], v[16:17]
	v_fma_f64 v[64:65], v[50:51], s[14:15], v[18:19]
	s_delay_alu instid0(VALU_DEP_4) | instskip(NEXT) | instid1(VALU_DEP_4)
	v_fma_f64 v[28:29], v[42:43], s[14:15], v[28:29]
	v_fma_f64 v[30:31], v[50:51], s[14:15], v[30:31]
	s_delay_alu instid0(VALU_DEP_4) | instskip(NEXT) | instid1(VALU_DEP_4)
	v_add_f64_e32 v[16:17], v[58:59], v[20:21]
	v_add_f64_e32 v[18:19], v[64:65], v[22:23]
	s_delay_alu instid0(VALU_DEP_4) | instskip(NEXT) | instid1(VALU_DEP_4)
	v_add_f64_e32 v[24:25], v[28:29], v[36:37]
	v_add_f64_e32 v[26:27], v[30:31], v[38:39]
	v_add_f64_e64 v[28:29], v[28:29], -v[36:37]
	v_add_f64_e64 v[30:31], v[30:31], -v[38:39]
	v_fma_f64 v[36:37], v[60:61], s[16:17], v[44:45]
	v_fma_f64 v[38:39], v[76:77], s[16:17], v[52:53]
	v_add_f64_e64 v[20:21], v[58:59], -v[20:21]
	v_add_f64_e64 v[22:23], v[64:65], -v[22:23]
	s_delay_alu instid0(VALU_DEP_4) | instskip(NEXT) | instid1(VALU_DEP_4)
	v_fma_f64 v[36:37], v[46:47], s[2:3], v[36:37]
	v_fma_f64 v[38:39], v[66:67], s[2:3], v[38:39]
	s_delay_alu instid0(VALU_DEP_2) | instskip(SKIP_1) | instid1(VALU_DEP_3)
	v_fma_f64 v[36:37], v[40:41], s[14:15], v[36:37]
	v_fma_f64 v[40:41], v[48:49], s[14:15], v[32:33]
	;; [unrolled: 1-line block ×3, first 2 shown]
	v_mul_f64_e32 v[38:39], s[12:13], v[34:35]
	v_mul_f64_e32 v[34:35], s[22:23], v[34:35]
	s_delay_alu instid0(VALU_DEP_2) | instskip(NEXT) | instid1(VALU_DEP_2)
	v_fma_f64 v[38:39], v[32:33], s[22:23], v[38:39]
	v_fma_f64 v[42:43], v[32:33], s[2:3], v[34:35]
	s_delay_alu instid0(VALU_DEP_2) | instskip(NEXT) | instid1(VALU_DEP_2)
	v_add_f64_e32 v[32:33], v[36:37], v[38:39]
	v_add_f64_e32 v[34:35], v[40:41], v[42:43]
	v_add_f64_e64 v[36:37], v[36:37], -v[38:39]
	v_add_f64_e64 v[38:39], v[40:41], -v[42:43]
	ds_store_b128 v196, v[0:3]
	ds_store_b128 v196, v[8:11] offset:16
	ds_store_b128 v196, v[16:19] offset:32
	;; [unrolled: 1-line block ×9, first 2 shown]
	global_wb scope:SCOPE_SE
	s_wait_dscnt 0x0
	s_barrier_signal -1
	s_barrier_wait -1
	global_inv scope:SCOPE_SE
	s_clause 0x1
	scratch_load_b128 v[6:9], off, off offset:492 th:TH_LOAD_LU
	scratch_load_b128 v[10:13], off, off offset:748 th:TH_LOAD_LU
	ds_load_b128 v[0:3], v150 offset:16000
	s_clause 0x1
	scratch_load_b128 v[14:17], off, off offset:764 th:TH_LOAD_LU
	scratch_load_b128 v[28:31], off, off offset:796 th:TH_LOAD_LU
	s_wait_loadcnt_dscnt 0x300
	v_mul_f64_e32 v[4:5], v[8:9], v[2:3]
	s_delay_alu instid0(VALU_DEP_1) | instskip(SKIP_1) | instid1(VALU_DEP_1)
	v_fma_f64 v[20:21], v[6:7], v[0:1], v[4:5]
	v_mul_f64_e32 v[0:1], v[8:9], v[0:1]
	v_fma_f64 v[22:23], v[6:7], v[2:3], -v[0:1]
	scratch_load_b128 v[6:9], off, off offset:508 th:TH_LOAD_LU ; 16-byte Folded Reload
	ds_load_b128 v[0:3], v150 offset:32000
	s_wait_loadcnt_dscnt 0x0
	v_mul_f64_e32 v[4:5], v[8:9], v[2:3]
	s_delay_alu instid0(VALU_DEP_1) | instskip(SKIP_1) | instid1(VALU_DEP_1)
	v_fma_f64 v[24:25], v[6:7], v[0:1], v[4:5]
	v_mul_f64_e32 v[0:1], v[8:9], v[0:1]
	v_fma_f64 v[26:27], v[6:7], v[2:3], -v[0:1]
	scratch_load_b128 v[6:9], off, off offset:524 th:TH_LOAD_LU ; 16-byte Folded Reload
	ds_load_b128 v[0:3], v150 offset:17600
	;; [unrolled: 8-line block ×15, first 2 shown]
	s_wait_loadcnt_dscnt 0x0
	v_mul_f64_e32 v[4:5], v[8:9], v[2:3]
	s_delay_alu instid0(VALU_DEP_1) | instskip(SKIP_1) | instid1(VALU_DEP_1)
	v_fma_f64 v[116:117], v[6:7], v[0:1], v[4:5]
	v_mul_f64_e32 v[0:1], v[8:9], v[0:1]
	v_fma_f64 v[118:119], v[6:7], v[2:3], -v[0:1]
	ds_load_b128 v[0:3], v150 offset:28800
	s_wait_dscnt 0x0
	v_mul_f64_e32 v[4:5], v[12:13], v[2:3]
	s_delay_alu instid0(VALU_DEP_1) | instskip(SKIP_1) | instid1(VALU_DEP_1)
	v_fma_f64 v[8:9], v[10:11], v[0:1], v[4:5]
	v_mul_f64_e32 v[0:1], v[12:13], v[0:1]
	v_fma_f64 v[10:11], v[10:11], v[2:3], -v[0:1]
	ds_load_b128 v[0:3], v150 offset:44800
	s_wait_dscnt 0x0
	v_mul_f64_e32 v[4:5], v[16:17], v[2:3]
	s_delay_alu instid0(VALU_DEP_1)
	v_fma_f64 v[12:13], v[14:15], v[0:1], v[4:5]
	v_mul_f64_e32 v[0:1], v[16:17], v[0:1]
	scratch_load_b128 v[16:19], off, off offset:780 th:TH_LOAD_LU ; 16-byte Folded Reload
	v_fma_f64 v[14:15], v[14:15], v[2:3], -v[0:1]
	ds_load_b128 v[2:5], v150 offset:30400
	s_wait_loadcnt_dscnt 0x0
	v_mul_f64_e32 v[0:1], v[18:19], v[4:5]
	s_delay_alu instid0(VALU_DEP_1) | instskip(SKIP_1) | instid1(VALU_DEP_1)
	v_fma_f64 v[0:1], v[16:17], v[2:3], v[0:1]
	v_mul_f64_e32 v[2:3], v[18:19], v[2:3]
	v_fma_f64 v[2:3], v[16:17], v[4:5], -v[2:3]
	ds_load_b128 v[16:19], v150 offset:46400
	s_wait_dscnt 0x0
	v_mul_f64_e32 v[4:5], v[30:31], v[18:19]
	v_mul_f64_e32 v[6:7], v[30:31], v[16:17]
	v_add_f64_e32 v[30:31], v[22:23], v[26:27]
	s_delay_alu instid0(VALU_DEP_3) | instskip(NEXT) | instid1(VALU_DEP_3)
	v_fma_f64 v[4:5], v[28:29], v[16:17], v[4:5]
	v_fma_f64 v[6:7], v[28:29], v[18:19], -v[6:7]
	ds_load_b128 v[16:19], v150
	v_add_f64_e32 v[28:29], v[20:21], v[24:25]
	s_wait_dscnt 0x0
	v_fma_f64 v[30:31], v[30:31], -0.5, v[18:19]
	v_add_f64_e32 v[18:19], v[18:19], v[22:23]
	v_add_f64_e64 v[22:23], v[22:23], -v[26:27]
	s_delay_alu instid0(VALU_DEP_4) | instskip(SKIP_1) | instid1(VALU_DEP_4)
	v_fma_f64 v[28:29], v[28:29], -0.5, v[16:17]
	v_add_f64_e32 v[16:17], v[16:17], v[20:21]
	v_add_f64_e32 v[18:19], v[18:19], v[26:27]
	v_add_f64_e64 v[26:27], v[20:21], -v[24:25]
	s_delay_alu instid0(VALU_DEP_4) | instskip(NEXT) | instid1(VALU_DEP_4)
	v_fma_f64 v[20:21], v[22:23], s[28:29], v[28:29]
	v_add_f64_e32 v[16:17], v[16:17], v[24:25]
	v_fma_f64 v[24:25], v[22:23], s[26:27], v[28:29]
	s_delay_alu instid0(VALU_DEP_4)
	v_fma_f64 v[22:23], v[26:27], s[26:27], v[30:31]
	v_fma_f64 v[26:27], v[26:27], s[28:29], v[30:31]
	ds_load_b128 v[28:31], v150 offset:14400
	ds_load_b128 v[32:35], v150 offset:1600
	;; [unrolled: 1-line block ×9, first 2 shown]
	global_wb scope:SCOPE_SE
	s_wait_dscnt 0x0
	s_barrier_signal -1
	s_barrier_wait -1
	global_inv scope:SCOPE_SE
	scratch_load_b32 v120, off, off offset:900 th:TH_LOAD_LU ; 4-byte Folded Reload
	s_wait_loadcnt 0x0
	ds_store_b128 v120, v[16:19]
	ds_store_b128 v120, v[20:23] offset:160
	ds_store_b128 v120, v[24:27] offset:320
	v_add_f64_e32 v[16:17], v[64:65], v[68:69]
	v_add_f64_e32 v[20:21], v[32:33], v[64:65]
	v_add_f64_e64 v[24:25], v[66:67], -v[70:71]
	s_delay_alu instid0(VALU_DEP_3) | instskip(SKIP_2) | instid1(VALU_DEP_2)
	v_fma_f64 v[22:23], v[16:17], -0.5, v[32:33]
	v_add_f64_e32 v[16:17], v[66:67], v[70:71]
	v_add_f64_e64 v[32:33], v[64:65], -v[68:69]
	v_fma_f64 v[26:27], v[16:17], -0.5, v[34:35]
	v_add_f64_e32 v[16:17], v[34:35], v[66:67]
	s_delay_alu instid0(VALU_DEP_1)
	v_add_f64_e32 v[18:19], v[16:17], v[70:71]
	v_add_f64_e32 v[16:17], v[20:21], v[68:69]
	v_fma_f64 v[20:21], v[24:25], s[28:29], v[22:23]
	v_fma_f64 v[24:25], v[24:25], s[26:27], v[22:23]
	v_fma_f64 v[22:23], v[32:33], s[26:27], v[26:27]
	v_fma_f64 v[26:27], v[32:33], s[28:29], v[26:27]
	scratch_load_b32 v32, off, off offset:896 th:TH_LOAD_LU ; 4-byte Folded Reload
	s_wait_loadcnt 0x0
	ds_store_b128 v32, v[16:19]
	ds_store_b128 v32, v[20:23] offset:160
	ds_store_b128 v32, v[24:27] offset:320
	v_add_f64_e32 v[16:17], v[72:73], v[76:77]
	v_add_f64_e32 v[20:21], v[36:37], v[72:73]
	v_add_f64_e64 v[24:25], v[74:75], -v[78:79]
	v_add_f64_e64 v[32:33], v[72:73], -v[76:77]
	s_delay_alu instid0(VALU_DEP_4) | instskip(SKIP_1) | instid1(VALU_DEP_1)
	v_fma_f64 v[22:23], v[16:17], -0.5, v[36:37]
	v_add_f64_e32 v[16:17], v[74:75], v[78:79]
	v_fma_f64 v[26:27], v[16:17], -0.5, v[38:39]
	v_add_f64_e32 v[16:17], v[38:39], v[74:75]
	s_delay_alu instid0(VALU_DEP_1)
	v_add_f64_e32 v[18:19], v[16:17], v[78:79]
	v_add_f64_e32 v[16:17], v[20:21], v[76:77]
	v_fma_f64 v[20:21], v[24:25], s[28:29], v[22:23]
	v_fma_f64 v[24:25], v[24:25], s[26:27], v[22:23]
	v_fma_f64 v[22:23], v[32:33], s[26:27], v[26:27]
	v_fma_f64 v[26:27], v[32:33], s[28:29], v[26:27]
	scratch_load_b32 v32, off, off offset:892 th:TH_LOAD_LU ; 4-byte Folded Reload
	s_wait_loadcnt 0x0
	ds_store_b128 v32, v[16:19]
	ds_store_b128 v32, v[20:23] offset:160
	ds_store_b128 v32, v[24:27] offset:320
	v_add_f64_e32 v[16:17], v[80:81], v[84:85]
	v_add_f64_e32 v[20:21], v[40:41], v[80:81]
	v_add_f64_e64 v[24:25], v[82:83], -v[86:87]
	v_add_f64_e64 v[32:33], v[80:81], -v[84:85]
	s_delay_alu instid0(VALU_DEP_4) | instskip(SKIP_1) | instid1(VALU_DEP_1)
	v_fma_f64 v[22:23], v[16:17], -0.5, v[40:41]
	v_add_f64_e32 v[16:17], v[82:83], v[86:87]
	;; [unrolled: 21-line block ×6, first 2 shown]
	v_fma_f64 v[26:27], v[16:17], -0.5, v[58:59]
	v_add_f64_e32 v[16:17], v[58:59], v[114:115]
	s_delay_alu instid0(VALU_DEP_1)
	v_add_f64_e32 v[18:19], v[16:17], v[118:119]
	v_add_f64_e32 v[16:17], v[20:21], v[116:117]
	v_fma_f64 v[20:21], v[24:25], s[28:29], v[22:23]
	v_fma_f64 v[24:25], v[24:25], s[26:27], v[22:23]
	;; [unrolled: 1-line block ×4, first 2 shown]
	scratch_load_b32 v32, off, off offset:1276 th:TH_LOAD_LU ; 4-byte Folded Reload
	s_wait_loadcnt 0x0
	ds_store_b128 v32, v[16:19]
	ds_store_b128 v32, v[20:23] offset:160
	ds_store_b128 v32, v[24:27] offset:320
	v_add_f64_e32 v[16:17], v[8:9], v[12:13]
	v_add_f64_e32 v[22:23], v[60:61], v[8:9]
	s_delay_alu instid0(VALU_DEP_2) | instskip(SKIP_1) | instid1(VALU_DEP_1)
	v_fma_f64 v[18:19], v[16:17], -0.5, v[60:61]
	v_add_f64_e32 v[16:17], v[10:11], v[14:15]
	v_fma_f64 v[20:21], v[16:17], -0.5, v[62:63]
	v_add_f64_e32 v[16:17], v[62:63], v[10:11]
	v_add_f64_e64 v[10:11], v[10:11], -v[14:15]
	s_delay_alu instid0(VALU_DEP_2) | instskip(SKIP_2) | instid1(VALU_DEP_4)
	v_add_f64_e32 v[16:17], v[16:17], v[14:15]
	v_add_f64_e32 v[14:15], v[22:23], v[12:13]
	v_add_f64_e64 v[12:13], v[8:9], -v[12:13]
	v_fma_f64 v[8:9], v[10:11], s[28:29], v[18:19]
	v_fma_f64 v[18:19], v[10:11], s[26:27], v[18:19]
	s_delay_alu instid0(VALU_DEP_3)
	v_fma_f64 v[10:11], v[12:13], s[26:27], v[20:21]
	v_fma_f64 v[20:21], v[12:13], s[28:29], v[20:21]
	scratch_load_b32 v12, off, off offset:1208 th:TH_LOAD_LU ; 4-byte Folded Reload
	s_wait_loadcnt 0x0
	ds_store_b128 v12, v[14:17]
	ds_store_b128 v12, v[8:11] offset:160
	ds_store_b128 v12, v[18:21] offset:320
	v_add_f64_e32 v[8:9], v[0:1], v[4:5]
	v_add_f64_e32 v[14:15], v[28:29], v[0:1]
	s_delay_alu instid0(VALU_DEP_2) | instskip(SKIP_1) | instid1(VALU_DEP_1)
	v_fma_f64 v[10:11], v[8:9], -0.5, v[28:29]
	v_add_f64_e32 v[8:9], v[2:3], v[6:7]
	v_fma_f64 v[12:13], v[8:9], -0.5, v[30:31]
	v_add_f64_e32 v[8:9], v[30:31], v[2:3]
	v_add_f64_e64 v[2:3], v[2:3], -v[6:7]
	s_delay_alu instid0(VALU_DEP_2) | instskip(SKIP_2) | instid1(VALU_DEP_4)
	v_add_f64_e32 v[8:9], v[8:9], v[6:7]
	v_add_f64_e32 v[6:7], v[14:15], v[4:5]
	v_add_f64_e64 v[4:5], v[0:1], -v[4:5]
	v_fma_f64 v[0:1], v[2:3], s[28:29], v[10:11]
	v_fma_f64 v[10:11], v[2:3], s[26:27], v[10:11]
	s_delay_alu instid0(VALU_DEP_3)
	v_fma_f64 v[2:3], v[4:5], s[26:27], v[12:13]
	v_fma_f64 v[12:13], v[4:5], s[28:29], v[12:13]
	ds_store_b128 v207, v[6:9]
	ds_store_b128 v207, v[0:3] offset:160
	ds_store_b128 v207, v[10:13] offset:320
	global_wb scope:SCOPE_SE
	s_wait_dscnt 0x0
	s_barrier_signal -1
	s_barrier_wait -1
	global_inv scope:SCOPE_SE
	scratch_load_b128 v[6:9], off, off offset:828 th:TH_LOAD_LU ; 16-byte Folded Reload
	ds_load_b128 v[0:3], v150 offset:4800
	s_wait_loadcnt_dscnt 0x0
	v_mul_f64_e32 v[4:5], v[8:9], v[2:3]
	s_delay_alu instid0(VALU_DEP_1) | instskip(SKIP_1) | instid1(VALU_DEP_1)
	v_fma_f64 v[92:93], v[6:7], v[0:1], v[4:5]
	v_mul_f64_e32 v[0:1], v[8:9], v[0:1]
	v_fma_f64 v[94:95], v[6:7], v[2:3], -v[0:1]
	scratch_load_b128 v[6:9], off, off offset:844 th:TH_LOAD_LU ; 16-byte Folded Reload
	ds_load_b128 v[0:3], v150 offset:9600
	s_wait_loadcnt_dscnt 0x0
	v_mul_f64_e32 v[4:5], v[8:9], v[2:3]
	s_delay_alu instid0(VALU_DEP_1) | instskip(SKIP_1) | instid1(VALU_DEP_1)
	v_fma_f64 v[96:97], v[6:7], v[0:1], v[4:5]
	v_mul_f64_e32 v[0:1], v[8:9], v[0:1]
	v_fma_f64 v[98:99], v[6:7], v[2:3], -v[0:1]
	;; [unrolled: 8-line block ×5, first 2 shown]
	scratch_load_b128 v[6:9], off, off offset:920 th:TH_LOAD_LU ; 16-byte Folded Reload
	ds_load_b128 v[0:3], v150 offset:28800
	s_wait_loadcnt_dscnt 0x0
	v_mul_f64_e32 v[4:5], v[8:9], v[2:3]
	s_delay_alu instid0(VALU_DEP_1) | instskip(SKIP_1) | instid1(VALU_DEP_2)
	v_fma_f64 v[112:113], v[6:7], v[0:1], v[4:5]
	v_mul_f64_e32 v[0:1], v[8:9], v[0:1]
	v_add_f64_e64 v[162:163], v[104:105], -v[112:113]
	s_delay_alu instid0(VALU_DEP_2)
	v_fma_f64 v[114:115], v[6:7], v[2:3], -v[0:1]
	scratch_load_b128 v[6:9], off, off offset:936 th:TH_LOAD_LU ; 16-byte Folded Reload
	ds_load_b128 v[0:3], v150 offset:33600
	v_add_f64_e64 v[158:159], v[106:107], -v[114:115]
	s_wait_loadcnt_dscnt 0x0
	v_mul_f64_e32 v[4:5], v[8:9], v[2:3]
	s_delay_alu instid0(VALU_DEP_1) | instskip(SKIP_1) | instid1(VALU_DEP_2)
	v_fma_f64 v[116:117], v[6:7], v[0:1], v[4:5]
	v_mul_f64_e32 v[0:1], v[8:9], v[0:1]
	v_add_f64_e64 v[146:147], v[108:109], -v[116:117]
	s_delay_alu instid0(VALU_DEP_2)
	v_fma_f64 v[118:119], v[6:7], v[2:3], -v[0:1]
	scratch_load_b128 v[6:9], off, off offset:952 th:TH_LOAD_LU ; 16-byte Folded Reload
	ds_load_b128 v[0:3], v150 offset:38400
	v_add_f64_e64 v[152:153], v[110:111], -v[118:119]
	;; [unrolled: 11-line block ×3, first 2 shown]
	v_add_f64_e64 v[156:157], v[98:99], -v[122:123]
	s_wait_loadcnt_dscnt 0x0
	v_mul_f64_e32 v[4:5], v[8:9], v[2:3]
	s_delay_alu instid0(VALU_DEP_1) | instskip(SKIP_1) | instid1(VALU_DEP_2)
	v_fma_f64 v[124:125], v[6:7], v[0:1], v[4:5]
	v_mul_f64_e32 v[0:1], v[8:9], v[0:1]
	v_add_f64_e64 v[14:15], v[124:125], -v[116:117]
	s_delay_alu instid0(VALU_DEP_2)
	v_fma_f64 v[126:127], v[6:7], v[2:3], -v[0:1]
	scratch_load_b128 v[6:9], off, off offset:984 th:TH_LOAD_LU ; 16-byte Folded Reload
	ds_load_b128 v[0:3], v150 offset:6400
	v_add_f64_e64 v[144:145], v[100:101], -v[124:125]
	v_add_f64_e64 v[148:149], v[102:103], -v[126:127]
	s_wait_loadcnt_dscnt 0x0
	v_mul_f64_e32 v[4:5], v[8:9], v[2:3]
	s_delay_alu instid0(VALU_DEP_1) | instskip(SKIP_1) | instid1(VALU_DEP_1)
	v_fma_f64 v[52:53], v[6:7], v[0:1], v[4:5]
	v_mul_f64_e32 v[0:1], v[8:9], v[0:1]
	v_fma_f64 v[54:55], v[6:7], v[2:3], -v[0:1]
	scratch_load_b128 v[6:9], off, off offset:1000 th:TH_LOAD_LU ; 16-byte Folded Reload
	ds_load_b128 v[0:3], v150 offset:11200
	s_wait_loadcnt_dscnt 0x0
	v_mul_f64_e32 v[4:5], v[8:9], v[2:3]
	s_delay_alu instid0(VALU_DEP_1) | instskip(SKIP_1) | instid1(VALU_DEP_1)
	v_fma_f64 v[58:59], v[6:7], v[0:1], v[4:5]
	v_mul_f64_e32 v[0:1], v[8:9], v[0:1]
	v_fma_f64 v[60:61], v[6:7], v[2:3], -v[0:1]
	scratch_load_b128 v[6:9], off, off offset:1016 th:TH_LOAD_LU ; 16-byte Folded Reload
	ds_load_b128 v[0:3], v150 offset:16000
	;; [unrolled: 8-line block ×17, first 2 shown]
	s_wait_loadcnt_dscnt 0x0
	v_mul_f64_e32 v[4:5], v[8:9], v[2:3]
	s_delay_alu instid0(VALU_DEP_1) | instskip(SKIP_2) | instid1(VALU_DEP_2)
	v_fma_f64 v[50:51], v[6:7], v[0:1], v[4:5]
	v_mul_f64_e32 v[0:1], v[8:9], v[0:1]
	v_add_f64_e32 v[4:5], v[104:105], v[112:113]
	v_fma_f64 v[44:45], v[6:7], v[2:3], -v[0:1]
	ds_load_b128 v[0:3], v150
	v_add_f64_e32 v[6:7], v[94:95], v[102:103]
	s_wait_dscnt 0x0
	v_fma_f64 v[128:129], v[4:5], -0.5, v[0:1]
	v_add_f64_e32 v[4:5], v[96:97], v[120:121]
	s_delay_alu instid0(VALU_DEP_3) | instskip(NEXT) | instid1(VALU_DEP_2)
	v_add_f64_e32 v[6:7], v[6:7], v[110:111]
	v_fma_f64 v[130:131], v[4:5], -0.5, v[0:1]
	v_add_f64_e32 v[4:5], v[106:107], v[114:115]
	v_add_f64_e32 v[0:1], v[0:1], v[96:97]
	s_delay_alu instid0(VALU_DEP_4) | instskip(NEXT) | instid1(VALU_DEP_3)
	v_add_f64_e32 v[6:7], v[6:7], v[118:119]
	v_fma_f64 v[132:133], v[4:5], -0.5, v[2:3]
	v_add_f64_e32 v[4:5], v[98:99], v[122:123]
	s_delay_alu instid0(VALU_DEP_4) | instskip(NEXT) | instid1(VALU_DEP_4)
	v_add_f64_e32 v[0:1], v[0:1], v[104:105]
	v_add_f64_e32 v[10:11], v[6:7], v[126:127]
	s_delay_alu instid0(VALU_DEP_3) | instskip(SKIP_3) | instid1(VALU_DEP_3)
	v_fma_f64 v[134:135], v[4:5], -0.5, v[2:3]
	v_add_f64_e32 v[2:3], v[2:3], v[98:99]
	v_add_f64_e32 v[4:5], v[92:93], v[100:101]
	;; [unrolled: 1-line block ×4, first 2 shown]
	s_delay_alu instid0(VALU_DEP_3) | instskip(NEXT) | instid1(VALU_DEP_3)
	v_add_f64_e32 v[4:5], v[4:5], v[108:109]
	v_add_f64_e32 v[0:1], v[0:1], v[120:121]
	s_delay_alu instid0(VALU_DEP_3) | instskip(NEXT) | instid1(VALU_DEP_3)
	v_add_f64_e32 v[2:3], v[2:3], v[114:115]
	v_add_f64_e32 v[4:5], v[4:5], v[116:117]
	s_delay_alu instid0(VALU_DEP_2) | instskip(NEXT) | instid1(VALU_DEP_2)
	v_add_f64_e32 v[2:3], v[2:3], v[122:123]
	v_add_f64_e32 v[8:9], v[4:5], v[124:125]
	s_delay_alu instid0(VALU_DEP_2) | instskip(NEXT) | instid1(VALU_DEP_2)
	v_add_f64_e32 v[6:7], v[2:3], v[10:11]
	v_add_f64_e32 v[4:5], v[0:1], v[8:9]
	v_add_f64_e64 v[8:9], v[0:1], -v[8:9]
	v_add_f64_e64 v[10:11], v[2:3], -v[10:11]
	;; [unrolled: 1-line block ×8, first 2 shown]
	v_add_f64_e32 v[0:1], v[0:1], v[2:3]
	v_add_f64_e64 v[2:3], v[98:99], -v[106:107]
	v_add_f64_e64 v[98:99], v[106:107], -v[98:99]
	v_add_f64_e64 v[106:107], v[114:115], -v[122:123]
	v_add_f64_e64 v[114:115], v[118:119], -v[126:127]
	v_add_f64_e32 v[104:105], v[96:97], v[104:105]
	v_add_f64_e64 v[122:123], v[66:67], -v[76:77]
	v_add_f64_e32 v[2:3], v[2:3], v[12:13]
	v_add_f64_e64 v[12:13], v[100:101], -v[108:109]
	v_add_f64_e32 v[106:107], v[98:99], v[106:107]
	s_delay_alu instid0(VALU_DEP_2) | instskip(SKIP_2) | instid1(VALU_DEP_1)
	v_add_f64_e32 v[136:137], v[12:13], v[14:15]
	v_add_f64_e64 v[12:13], v[102:103], -v[110:111]
	v_add_f64_e64 v[14:15], v[126:127], -v[118:119]
	v_add_f64_e32 v[138:139], v[12:13], v[14:15]
	v_add_f64_e32 v[12:13], v[108:109], v[116:117]
	v_add_f64_e64 v[108:109], v[108:109], -v[100:101]
	v_add_f64_e32 v[100:101], v[100:101], v[124:125]
	v_add_f64_e64 v[124:125], v[58:59], -v[82:83]
	s_delay_alu instid0(VALU_DEP_4)
	v_fma_f64 v[140:141], v[12:13], -0.5, v[92:93]
	v_add_f64_e32 v[12:13], v[110:111], v[118:119]
	v_add_f64_e64 v[110:111], v[110:111], -v[102:103]
	v_add_f64_e32 v[102:103], v[102:103], v[126:127]
	v_fma_f64 v[100:101], v[100:101], -0.5, v[92:93]
	v_add_f64_e32 v[108:109], v[108:109], v[112:113]
	v_add_f64_e64 v[126:127], v[64:65], -v[74:75]
	v_fma_f64 v[14:15], v[148:149], s[18:19], v[140:141]
	v_fma_f64 v[142:143], v[12:13], -0.5, v[94:95]
	v_add_f64_e32 v[110:111], v[110:111], v[114:115]
	v_fma_f64 v[102:103], v[102:103], -0.5, v[94:95]
	v_fma_f64 v[94:95], v[152:153], s[16:17], v[100:101]
	v_fma_f64 v[100:101], v[152:153], s[18:19], v[100:101]
	;; [unrolled: 1-line block ×16, first 2 shown]
	s_delay_alu instid0(VALU_DEP_4) | instskip(NEXT) | instid1(VALU_DEP_3)
	v_fma_f64 v[102:103], v[110:111], s[14:15], v[102:103]
	v_mul_f64_e32 v[88:89], s[12:13], v[12:13]
	v_mul_f64_e32 v[12:13], s[20:21], v[12:13]
	s_delay_alu instid0(VALU_DEP_4)
	v_mul_f64_e32 v[96:97], s[18:19], v[92:93]
	v_mul_f64_e32 v[92:93], s[14:15], v[92:93]
	;; [unrolled: 1-line block ×4, first 2 shown]
	v_fma_f64 v[154:155], v[14:15], s[20:21], v[88:89]
	v_fma_f64 v[14:15], v[14:15], s[2:3], v[12:13]
	;; [unrolled: 1-line block ×12, first 2 shown]
	s_delay_alu instid0(VALU_DEP_4) | instskip(NEXT) | instid1(VALU_DEP_4)
	v_fma_f64 v[12:13], v[158:159], s[12:13], v[12:13]
	v_fma_f64 v[88:89], v[162:163], s[2:3], v[88:89]
	s_delay_alu instid0(VALU_DEP_4) | instskip(NEXT) | instid1(VALU_DEP_4)
	v_fma_f64 v[112:113], v[104:105], s[14:15], v[92:93]
	v_fma_f64 v[114:115], v[106:107], s[14:15], v[94:95]
	;; [unrolled: 3-line block ×3, first 2 shown]
	s_delay_alu instid0(VALU_DEP_4)
	v_add_f64_e32 v[92:93], v[112:113], v[96:97]
	v_add_f64_e64 v[96:97], v[112:113], -v[96:97]
	v_fma_f64 v[112:113], v[158:159], s[18:19], v[130:131]
	v_add_f64_e32 v[94:95], v[114:115], v[98:99]
	v_add_f64_e64 v[98:99], v[114:115], -v[98:99]
	v_fma_f64 v[114:115], v[148:149], s[16:17], v[140:141]
	v_add_f64_e32 v[88:89], v[12:13], v[154:155]
	v_add_f64_e32 v[90:91], v[164:165], v[14:15]
	v_add_f64_e64 v[12:13], v[12:13], -v[154:155]
	v_add_f64_e64 v[14:15], v[164:165], -v[14:15]
	v_fma_f64 v[112:113], v[156:157], s[2:3], v[112:113]
	v_fma_f64 v[114:115], v[152:153], s[2:3], v[114:115]
	s_delay_alu instid0(VALU_DEP_2) | instskip(SKIP_1) | instid1(VALU_DEP_2)
	v_fma_f64 v[104:105], v[104:105], s[14:15], v[112:113]
	v_fma_f64 v[112:113], v[162:163], s[16:17], v[134:135]
	v_add_f64_e32 v[100:101], v[104:105], v[108:109]
	s_delay_alu instid0(VALU_DEP_2) | instskip(SKIP_2) | instid1(VALU_DEP_3)
	v_fma_f64 v[112:113], v[160:161], s[12:13], v[112:113]
	v_add_f64_e64 v[104:105], v[104:105], -v[108:109]
	v_fma_f64 v[108:109], v[144:145], s[18:19], v[142:143]
	v_fma_f64 v[106:107], v[106:107], s[14:15], v[112:113]
	;; [unrolled: 1-line block ×3, first 2 shown]
	s_delay_alu instid0(VALU_DEP_3) | instskip(NEXT) | instid1(VALU_DEP_3)
	v_fma_f64 v[108:109], v[146:147], s[12:13], v[108:109]
	v_add_f64_e32 v[102:103], v[106:107], v[110:111]
	v_add_f64_e64 v[106:107], v[106:107], -v[110:111]
	v_fma_f64 v[110:111], v[156:157], s[16:17], v[128:129]
	v_fma_f64 v[112:113], v[162:163], s[12:13], v[112:113]
	;; [unrolled: 1-line block ×3, first 2 shown]
	s_delay_alu instid0(VALU_DEP_3) | instskip(NEXT) | instid1(VALU_DEP_3)
	v_fma_f64 v[110:111], v[158:159], s[2:3], v[110:111]
	v_fma_f64 v[2:3], v[2:3], s[14:15], v[112:113]
	s_delay_alu instid0(VALU_DEP_3) | instskip(SKIP_1) | instid1(VALU_DEP_4)
	v_mul_f64_e32 v[112:113], s[12:13], v[108:109]
	v_mul_f64_e32 v[108:109], s[22:23], v[108:109]
	v_fma_f64 v[0:1], v[0:1], s[14:15], v[110:111]
	v_fma_f64 v[110:111], v[136:137], s[14:15], v[114:115]
	s_delay_alu instid0(VALU_DEP_1) | instskip(NEXT) | instid1(VALU_DEP_4)
	v_fma_f64 v[112:113], v[110:111], s[22:23], v[112:113]
	v_fma_f64 v[114:115], v[110:111], s[2:3], v[108:109]
	s_delay_alu instid0(VALU_DEP_2) | instskip(NEXT) | instid1(VALU_DEP_2)
	v_add_f64_e32 v[108:109], v[0:1], v[112:113]
	v_add_f64_e32 v[110:111], v[2:3], v[114:115]
	v_add_f64_e64 v[112:113], v[0:1], -v[112:113]
	v_add_f64_e64 v[114:115], v[2:3], -v[114:115]
	ds_load_b128 v[116:119], v150 offset:1600
	ds_load_b128 v[0:3], v150 offset:3200
	global_wb scope:SCOPE_SE
	s_wait_dscnt 0x0
	s_barrier_signal -1
	s_barrier_wait -1
	global_inv scope:SCOPE_SE
	ds_store_b128 v184, v[4:7]
	ds_store_b128 v184, v[8:11] offset:2400
	ds_store_b128 v184, v[88:91] offset:480
	;; [unrolled: 1-line block ×9, first 2 shown]
	v_add_f64_e32 v[4:5], v[64:65], v[74:75]
	v_add_f64_e32 v[6:7], v[118:119], v[60:61]
	v_add_f64_e32 v[8:9], v[52:53], v[62:63]
	v_add_f64_e32 v[10:11], v[54:55], v[56:57]
	v_add_f64_e64 v[112:113], v[62:63], -v[86:87]
	v_add_f64_e64 v[114:115], v[70:71], -v[78:79]
	v_fma_f64 v[92:93], v[4:5], -0.5, v[116:117]
	v_add_f64_e32 v[4:5], v[58:59], v[82:83]
	v_add_f64_e32 v[6:7], v[6:7], v[66:67]
	;; [unrolled: 1-line block ×4, first 2 shown]
	s_delay_alu instid0(VALU_DEP_4) | instskip(SKIP_4) | instid1(VALU_DEP_4)
	v_fma_f64 v[94:95], v[4:5], -0.5, v[116:117]
	v_add_f64_e32 v[4:5], v[66:67], v[76:77]
	v_add_f64_e32 v[6:7], v[6:7], v[76:77]
	;; [unrolled: 1-line block ×4, first 2 shown]
	v_fma_f64 v[96:97], v[4:5], -0.5, v[118:119]
	v_add_f64_e32 v[4:5], v[60:61], v[84:85]
	v_add_f64_e32 v[14:15], v[6:7], v[84:85]
	;; [unrolled: 1-line block ×4, first 2 shown]
	s_delay_alu instid0(VALU_DEP_4) | instskip(SKIP_2) | instid1(VALU_DEP_4)
	v_fma_f64 v[98:99], v[4:5], -0.5, v[118:119]
	v_add_f64_e32 v[4:5], v[116:117], v[58:59]
	v_add_f64_e64 v[116:117], v[56:57], -v[80:81]
	v_add_f64_e32 v[6:7], v[14:15], v[10:11]
	v_add_f64_e64 v[10:11], v[14:15], -v[10:11]
	v_add_f64_e64 v[14:15], v[82:83], -v[74:75]
	;; [unrolled: 1-line block ×3, first 2 shown]
	v_add_f64_e32 v[4:5], v[4:5], v[64:65]
	s_delay_alu instid0(VALU_DEP_1) | instskip(NEXT) | instid1(VALU_DEP_1)
	v_add_f64_e32 v[4:5], v[4:5], v[74:75]
	v_add_f64_e32 v[12:13], v[4:5], v[82:83]
	s_delay_alu instid0(VALU_DEP_1)
	v_add_f64_e32 v[4:5], v[12:13], v[8:9]
	v_add_f64_e64 v[8:9], v[12:13], -v[8:9]
	v_add_f64_e64 v[12:13], v[58:59], -v[64:65]
	;; [unrolled: 1-line block ×6, first 2 shown]
	v_add_f64_e32 v[100:101], v[12:13], v[14:15]
	v_add_f64_e64 v[12:13], v[60:61], -v[66:67]
	v_add_f64_e64 v[14:15], v[84:85], -v[76:77]
	;; [unrolled: 1-line block ×4, first 2 shown]
	v_add_f64_e32 v[64:65], v[58:59], v[64:65]
	v_add_f64_e64 v[84:85], v[22:23], -v[46:47]
	v_add_f64_e32 v[102:103], v[12:13], v[14:15]
	v_add_f64_e64 v[12:13], v[62:63], -v[70:71]
	v_add_f64_e64 v[14:15], v[86:87], -v[78:79]
	v_add_f64_e32 v[60:61], v[60:61], v[66:67]
	s_delay_alu instid0(VALU_DEP_2) | instskip(SKIP_2) | instid1(VALU_DEP_1)
	v_add_f64_e32 v[104:105], v[12:13], v[14:15]
	v_add_f64_e64 v[12:13], v[56:57], -v[68:69]
	v_add_f64_e64 v[14:15], v[80:81], -v[72:73]
	v_add_f64_e32 v[106:107], v[12:13], v[14:15]
	v_add_f64_e32 v[12:13], v[70:71], v[78:79]
	v_add_f64_e64 v[70:71], v[70:71], -v[62:63]
	v_add_f64_e32 v[62:63], v[62:63], v[86:87]
	v_add_f64_e64 v[86:87], v[28:29], -v[38:39]
	s_delay_alu instid0(VALU_DEP_4)
	v_fma_f64 v[108:109], v[12:13], -0.5, v[52:53]
	v_add_f64_e32 v[12:13], v[68:69], v[72:73]
	v_add_f64_e64 v[68:69], v[68:69], -v[56:57]
	v_add_f64_e32 v[56:57], v[56:57], v[80:81]
	v_add_f64_e64 v[72:73], v[72:73], -v[80:81]
	v_fma_f64 v[62:63], v[62:63], -0.5, v[52:53]
	v_add_f64_e32 v[66:67], v[70:71], v[74:75]
	v_add_f64_e64 v[80:81], v[24:25], -v[48:49]
	v_fma_f64 v[14:15], v[116:117], s[18:19], v[108:109]
	v_fma_f64 v[110:111], v[12:13], -0.5, v[54:55]
	v_fma_f64 v[74:75], v[116:117], s[16:17], v[108:109]
	v_fma_f64 v[76:77], v[56:57], -0.5, v[54:55]
	v_add_f64_e32 v[68:69], v[68:69], v[72:73]
	v_fma_f64 v[54:55], v[118:119], s[16:17], v[62:63]
	v_fma_f64 v[62:63], v[118:119], s[18:19], v[62:63]
	;; [unrolled: 1-line block ×13, first 2 shown]
	s_delay_alu instid0(VALU_DEP_4) | instskip(NEXT) | instid1(VALU_DEP_4)
	v_fma_f64 v[12:13], v[106:107], s[14:15], v[12:13]
	v_fma_f64 v[52:53], v[68:69], s[14:15], v[52:53]
	s_delay_alu instid0(VALU_DEP_2) | instskip(SKIP_1) | instid1(VALU_DEP_3)
	v_mul_f64_e32 v[88:89], s[12:13], v[12:13]
	v_mul_f64_e32 v[12:13], s[20:21], v[12:13]
	;; [unrolled: 1-line block ×4, first 2 shown]
	s_delay_alu instid0(VALU_DEP_4) | instskip(NEXT) | instid1(VALU_DEP_4)
	v_fma_f64 v[88:89], v[14:15], s[20:21], v[88:89]
	v_fma_f64 v[90:91], v[14:15], s[2:3], v[12:13]
	s_delay_alu instid0(VALU_DEP_4) | instskip(NEXT) | instid1(VALU_DEP_4)
	v_fma_f64 v[56:57], v[54:55], s[14:15], v[56:57]
	v_fma_f64 v[58:59], v[54:55], s[16:17], v[52:53]
	;; [unrolled: 1-line block ×6, first 2 shown]
	s_delay_alu instid0(VALU_DEP_4) | instskip(NEXT) | instid1(VALU_DEP_4)
	v_fma_f64 v[52:53], v[120:121], s[12:13], v[52:53]
	v_fma_f64 v[54:55], v[124:125], s[2:3], v[54:55]
	s_delay_alu instid0(VALU_DEP_4) | instskip(NEXT) | instid1(VALU_DEP_4)
	v_fma_f64 v[12:13], v[122:123], s[12:13], v[12:13]
	v_fma_f64 v[14:15], v[126:127], s[2:3], v[14:15]
	;; [unrolled: 3-line block ×4, first 2 shown]
	s_delay_alu instid0(VALU_DEP_4)
	v_add_f64_e32 v[52:53], v[70:71], v[56:57]
	v_add_f64_e64 v[56:57], v[70:71], -v[56:57]
	v_fma_f64 v[70:71], v[122:123], s[18:19], v[94:95]
	v_add_f64_e32 v[54:55], v[72:73], v[58:59]
	v_add_f64_e64 v[58:59], v[72:73], -v[58:59]
	v_fma_f64 v[72:73], v[124:125], s[18:19], v[96:97]
	v_add_f64_e32 v[12:13], v[128:129], v[88:89]
	v_add_f64_e32 v[14:15], v[130:131], v[90:91]
	v_add_f64_e64 v[88:89], v[128:129], -v[88:89]
	v_add_f64_e64 v[90:91], v[130:131], -v[90:91]
	v_fma_f64 v[70:71], v[120:121], s[2:3], v[70:71]
	v_fma_f64 v[72:73], v[126:127], s[12:13], v[72:73]
	s_delay_alu instid0(VALU_DEP_2) | instskip(SKIP_1) | instid1(VALU_DEP_3)
	v_fma_f64 v[64:65], v[64:65], s[14:15], v[70:71]
	v_fma_f64 v[70:71], v[126:127], s[16:17], v[98:99]
	;; [unrolled: 1-line block ×3, first 2 shown]
	s_delay_alu instid0(VALU_DEP_2) | instskip(NEXT) | instid1(VALU_DEP_1)
	v_fma_f64 v[70:71], v[124:125], s[12:13], v[70:71]
	v_fma_f64 v[70:71], v[60:61], s[14:15], v[70:71]
	;; [unrolled: 1-line block ×3, first 2 shown]
	s_delay_alu instid0(VALU_DEP_1) | instskip(NEXT) | instid1(VALU_DEP_1)
	v_fma_f64 v[60:61], v[112:113], s[12:13], v[60:61]
	v_fma_f64 v[60:61], v[68:69], s[14:15], v[60:61]
	s_delay_alu instid0(VALU_DEP_1) | instskip(SKIP_1) | instid1(VALU_DEP_2)
	v_mul_f64_e32 v[66:67], s[18:19], v[60:61]
	v_mul_f64_e32 v[60:61], s[24:25], v[60:61]
	v_fma_f64 v[66:67], v[62:63], s[24:25], v[66:67]
	s_delay_alu instid0(VALU_DEP_2) | instskip(NEXT) | instid1(VALU_DEP_2)
	v_fma_f64 v[68:69], v[62:63], s[16:17], v[60:61]
	v_add_f64_e32 v[60:61], v[64:65], v[66:67]
	s_delay_alu instid0(VALU_DEP_2) | instskip(SKIP_4) | instid1(VALU_DEP_2)
	v_add_f64_e32 v[62:63], v[70:71], v[68:69]
	v_add_f64_e64 v[64:65], v[64:65], -v[66:67]
	v_add_f64_e64 v[66:67], v[70:71], -v[68:69]
	v_fma_f64 v[68:69], v[112:113], s[18:19], v[110:111]
	v_fma_f64 v[70:71], v[120:121], s[16:17], v[92:93]
	;; [unrolled: 1-line block ×3, first 2 shown]
	s_delay_alu instid0(VALU_DEP_2) | instskip(NEXT) | instid1(VALU_DEP_2)
	v_fma_f64 v[70:71], v[122:123], s[2:3], v[70:71]
	v_fma_f64 v[68:69], v[106:107], s[14:15], v[68:69]
	s_delay_alu instid0(VALU_DEP_2) | instskip(SKIP_1) | instid1(VALU_DEP_3)
	v_fma_f64 v[76:77], v[100:101], s[14:15], v[70:71]
	v_fma_f64 v[70:71], v[104:105], s[14:15], v[74:75]
	v_mul_f64_e32 v[72:73], s[12:13], v[68:69]
	v_mul_f64_e32 v[68:69], s[22:23], v[68:69]
	s_delay_alu instid0(VALU_DEP_2) | instskip(NEXT) | instid1(VALU_DEP_2)
	v_fma_f64 v[72:73], v[70:71], s[22:23], v[72:73]
	v_fma_f64 v[74:75], v[70:71], s[2:3], v[68:69]
	s_delay_alu instid0(VALU_DEP_2) | instskip(NEXT) | instid1(VALU_DEP_2)
	v_add_f64_e32 v[68:69], v[76:77], v[72:73]
	v_add_f64_e32 v[70:71], v[78:79], v[74:75]
	v_add_f64_e64 v[72:73], v[76:77], -v[72:73]
	v_add_f64_e64 v[74:75], v[78:79], -v[74:75]
	ds_store_b128 v151, v[4:7]
	ds_store_b128 v151, v[12:15] offset:480
	ds_store_b128 v151, v[52:55] offset:960
	;; [unrolled: 1-line block ×9, first 2 shown]
	v_add_f64_e32 v[4:5], v[28:29], v[38:39]
	v_add_f64_e32 v[6:7], v[18:19], v[20:21]
	v_add_f64_e64 v[76:77], v[20:21], -v[44:45]
	v_add_f64_e64 v[78:79], v[32:33], -v[36:37]
	;; [unrolled: 1-line block ×4, first 2 shown]
	v_fma_f64 v[52:53], v[4:5], -0.5, v[0:1]
	v_add_f64_e32 v[4:5], v[22:23], v[46:47]
	v_add_f64_e32 v[6:7], v[6:7], v[32:33]
	s_delay_alu instid0(VALU_DEP_2) | instskip(SKIP_2) | instid1(VALU_DEP_4)
	v_fma_f64 v[54:55], v[4:5], -0.5, v[0:1]
	v_add_f64_e32 v[4:5], v[30:31], v[40:41]
	v_add_f64_e32 v[0:1], v[0:1], v[22:23]
	;; [unrolled: 1-line block ×3, first 2 shown]
	s_delay_alu instid0(VALU_DEP_3) | instskip(SKIP_1) | instid1(VALU_DEP_4)
	v_fma_f64 v[56:57], v[4:5], -0.5, v[2:3]
	v_add_f64_e32 v[4:5], v[24:25], v[48:49]
	v_add_f64_e32 v[0:1], v[0:1], v[28:29]
	s_delay_alu instid0(VALU_DEP_4) | instskip(NEXT) | instid1(VALU_DEP_3)
	v_add_f64_e32 v[6:7], v[6:7], v[44:45]
	v_fma_f64 v[58:59], v[4:5], -0.5, v[2:3]
	v_add_f64_e32 v[2:3], v[2:3], v[24:25]
	v_add_f64_e32 v[4:5], v[16:17], v[26:27]
	;; [unrolled: 1-line block ×3, first 2 shown]
	s_delay_alu instid0(VALU_DEP_3) | instskip(NEXT) | instid1(VALU_DEP_3)
	v_add_f64_e32 v[2:3], v[2:3], v[30:31]
	v_add_f64_e32 v[4:5], v[4:5], v[34:35]
	s_delay_alu instid0(VALU_DEP_3) | instskip(NEXT) | instid1(VALU_DEP_3)
	v_add_f64_e32 v[8:9], v[0:1], v[46:47]
	v_add_f64_e32 v[2:3], v[2:3], v[40:41]
	s_delay_alu instid0(VALU_DEP_3) | instskip(NEXT) | instid1(VALU_DEP_2)
	v_add_f64_e32 v[4:5], v[4:5], v[42:43]
	v_add_f64_e32 v[10:11], v[2:3], v[48:49]
	s_delay_alu instid0(VALU_DEP_2) | instskip(NEXT) | instid1(VALU_DEP_2)
	v_add_f64_e32 v[4:5], v[4:5], v[50:51]
	v_add_f64_e32 v[2:3], v[10:11], v[6:7]
	s_delay_alu instid0(VALU_DEP_2)
	v_add_f64_e32 v[0:1], v[8:9], v[4:5]
	v_add_f64_e64 v[4:5], v[8:9], -v[4:5]
	v_add_f64_e64 v[6:7], v[10:11], -v[6:7]
	;; [unrolled: 1-line block ×7, first 2 shown]
	s_delay_alu instid0(VALU_DEP_4)
	v_add_f64_e32 v[60:61], v[8:9], v[10:11]
	v_add_f64_e64 v[8:9], v[24:25], -v[30:31]
	v_add_f64_e64 v[10:11], v[48:49], -v[40:41]
	;; [unrolled: 1-line block ×4, first 2 shown]
	v_add_f64_e32 v[28:29], v[22:23], v[28:29]
	s_delay_alu instid0(VALU_DEP_4) | instskip(SKIP_3) | instid1(VALU_DEP_2)
	v_add_f64_e32 v[62:63], v[8:9], v[10:11]
	v_add_f64_e64 v[8:9], v[26:27], -v[34:35]
	v_add_f64_e64 v[10:11], v[50:51], -v[42:43]
	v_add_f64_e32 v[24:25], v[24:25], v[30:31]
	v_add_f64_e32 v[64:65], v[8:9], v[10:11]
	v_add_f64_e64 v[8:9], v[20:21], -v[32:33]
	v_add_f64_e64 v[10:11], v[44:45], -v[36:37]
	s_delay_alu instid0(VALU_DEP_1) | instskip(SKIP_3) | instid1(VALU_DEP_3)
	v_add_f64_e32 v[66:67], v[8:9], v[10:11]
	v_add_f64_e32 v[8:9], v[34:35], v[42:43]
	v_add_f64_e64 v[34:35], v[34:35], -v[26:27]
	v_add_f64_e32 v[26:27], v[26:27], v[50:51]
	v_fma_f64 v[68:69], v[8:9], -0.5, v[16:17]
	v_add_f64_e32 v[8:9], v[32:33], v[36:37]
	v_add_f64_e64 v[32:33], v[32:33], -v[20:21]
	v_add_f64_e32 v[20:21], v[20:21], v[44:45]
	v_add_f64_e64 v[36:37], v[36:37], -v[44:45]
	v_fma_f64 v[26:27], v[26:27], -0.5, v[16:17]
	v_add_f64_e32 v[30:31], v[34:35], v[38:39]
	v_fma_f64 v[10:11], v[76:77], s[18:19], v[68:69]
	v_fma_f64 v[70:71], v[8:9], -0.5, v[18:19]
	v_fma_f64 v[38:39], v[76:77], s[16:17], v[68:69]
	v_fma_f64 v[40:41], v[20:21], -0.5, v[18:19]
	v_add_f64_e32 v[32:33], v[32:33], v[36:37]
	v_fma_f64 v[18:19], v[78:79], s[16:17], v[26:27]
	v_fma_f64 v[26:27], v[78:79], s[18:19], v[26:27]
	;; [unrolled: 1-line block ×13, first 2 shown]
	s_delay_alu instid0(VALU_DEP_4) | instskip(NEXT) | instid1(VALU_DEP_4)
	v_fma_f64 v[8:9], v[66:67], s[14:15], v[8:9]
	v_fma_f64 v[16:17], v[32:33], s[14:15], v[16:17]
	s_delay_alu instid0(VALU_DEP_2) | instskip(SKIP_1) | instid1(VALU_DEP_3)
	v_mul_f64_e32 v[12:13], s[12:13], v[8:9]
	v_mul_f64_e32 v[8:9], s[20:21], v[8:9]
	;; [unrolled: 1-line block ×4, first 2 shown]
	s_delay_alu instid0(VALU_DEP_4) | instskip(NEXT) | instid1(VALU_DEP_4)
	v_fma_f64 v[12:13], v[10:11], s[20:21], v[12:13]
	v_fma_f64 v[14:15], v[10:11], s[2:3], v[8:9]
	s_delay_alu instid0(VALU_DEP_4) | instskip(NEXT) | instid1(VALU_DEP_4)
	v_fma_f64 v[20:21], v[18:19], s[14:15], v[20:21]
	v_fma_f64 v[22:23], v[18:19], s[16:17], v[16:17]
	;; [unrolled: 1-line block ×6, first 2 shown]
	s_delay_alu instid0(VALU_DEP_4) | instskip(NEXT) | instid1(VALU_DEP_4)
	v_fma_f64 v[16:17], v[80:81], s[12:13], v[16:17]
	v_fma_f64 v[18:19], v[84:85], s[2:3], v[18:19]
	s_delay_alu instid0(VALU_DEP_4) | instskip(NEXT) | instid1(VALU_DEP_4)
	v_fma_f64 v[8:9], v[82:83], s[12:13], v[8:9]
	v_fma_f64 v[10:11], v[86:87], s[2:3], v[10:11]
	;; [unrolled: 3-line block ×4, first 2 shown]
	s_delay_alu instid0(VALU_DEP_4)
	v_add_f64_e32 v[16:17], v[34:35], v[20:21]
	v_add_f64_e64 v[20:21], v[34:35], -v[20:21]
	v_fma_f64 v[34:35], v[82:83], s[18:19], v[54:55]
	v_add_f64_e32 v[18:19], v[36:37], v[22:23]
	v_add_f64_e64 v[22:23], v[36:37], -v[22:23]
	v_fma_f64 v[36:37], v[84:85], s[18:19], v[56:57]
	v_add_f64_e32 v[8:9], v[88:89], v[12:13]
	v_add_f64_e32 v[10:11], v[90:91], v[14:15]
	v_add_f64_e64 v[12:13], v[88:89], -v[12:13]
	v_add_f64_e64 v[14:15], v[90:91], -v[14:15]
	v_fma_f64 v[34:35], v[80:81], s[2:3], v[34:35]
	v_fma_f64 v[36:37], v[86:87], s[12:13], v[36:37]
	s_delay_alu instid0(VALU_DEP_2) | instskip(SKIP_1) | instid1(VALU_DEP_3)
	v_fma_f64 v[28:29], v[28:29], s[14:15], v[34:35]
	v_fma_f64 v[34:35], v[86:87], s[16:17], v[58:59]
	;; [unrolled: 1-line block ×3, first 2 shown]
	s_delay_alu instid0(VALU_DEP_2) | instskip(NEXT) | instid1(VALU_DEP_1)
	v_fma_f64 v[34:35], v[84:85], s[12:13], v[34:35]
	v_fma_f64 v[34:35], v[24:25], s[14:15], v[34:35]
	;; [unrolled: 1-line block ×3, first 2 shown]
	s_delay_alu instid0(VALU_DEP_1) | instskip(NEXT) | instid1(VALU_DEP_1)
	v_fma_f64 v[24:25], v[72:73], s[12:13], v[24:25]
	v_fma_f64 v[24:25], v[32:33], s[14:15], v[24:25]
	s_delay_alu instid0(VALU_DEP_1) | instskip(SKIP_1) | instid1(VALU_DEP_2)
	v_mul_f64_e32 v[30:31], s[18:19], v[24:25]
	v_mul_f64_e32 v[24:25], s[24:25], v[24:25]
	v_fma_f64 v[30:31], v[26:27], s[24:25], v[30:31]
	s_delay_alu instid0(VALU_DEP_2) | instskip(NEXT) | instid1(VALU_DEP_2)
	v_fma_f64 v[32:33], v[26:27], s[16:17], v[24:25]
	v_add_f64_e32 v[24:25], v[28:29], v[30:31]
	s_delay_alu instid0(VALU_DEP_2) | instskip(SKIP_4) | instid1(VALU_DEP_2)
	v_add_f64_e32 v[26:27], v[34:35], v[32:33]
	v_add_f64_e64 v[28:29], v[28:29], -v[30:31]
	v_add_f64_e64 v[30:31], v[34:35], -v[32:33]
	v_fma_f64 v[32:33], v[72:73], s[18:19], v[70:71]
	v_fma_f64 v[34:35], v[80:81], s[16:17], v[52:53]
	;; [unrolled: 1-line block ×3, first 2 shown]
	s_delay_alu instid0(VALU_DEP_2) | instskip(NEXT) | instid1(VALU_DEP_2)
	v_fma_f64 v[34:35], v[82:83], s[2:3], v[34:35]
	v_fma_f64 v[32:33], v[66:67], s[14:15], v[32:33]
	s_delay_alu instid0(VALU_DEP_2) | instskip(SKIP_1) | instid1(VALU_DEP_3)
	v_fma_f64 v[40:41], v[60:61], s[14:15], v[34:35]
	v_fma_f64 v[34:35], v[64:65], s[14:15], v[38:39]
	v_mul_f64_e32 v[36:37], s[12:13], v[32:33]
	v_mul_f64_e32 v[32:33], s[22:23], v[32:33]
	s_delay_alu instid0(VALU_DEP_2) | instskip(NEXT) | instid1(VALU_DEP_2)
	v_fma_f64 v[36:37], v[34:35], s[22:23], v[36:37]
	v_fma_f64 v[38:39], v[34:35], s[2:3], v[32:33]
	s_delay_alu instid0(VALU_DEP_2) | instskip(NEXT) | instid1(VALU_DEP_2)
	v_add_f64_e32 v[32:33], v[40:41], v[36:37]
	v_add_f64_e32 v[34:35], v[42:43], v[38:39]
	v_add_f64_e64 v[36:37], v[40:41], -v[36:37]
	v_add_f64_e64 v[38:39], v[42:43], -v[38:39]
	ds_store_b128 v189, v[0:3]
	ds_store_b128 v189, v[8:11] offset:480
	ds_store_b128 v189, v[16:19] offset:960
	;; [unrolled: 1-line block ×9, first 2 shown]
	global_wb scope:SCOPE_SE
	s_wait_dscnt 0x0
	s_barrier_signal -1
	s_barrier_wait -1
	global_inv scope:SCOPE_SE
	scratch_load_b128 v[6:9], off, off offset:1328 th:TH_LOAD_LU ; 16-byte Folded Reload
	ds_load_b128 v[0:3], v150 offset:4800
	s_wait_loadcnt_dscnt 0x0
	v_mul_f64_e32 v[4:5], v[8:9], v[2:3]
	s_delay_alu instid0(VALU_DEP_1) | instskip(SKIP_1) | instid1(VALU_DEP_1)
	v_fma_f64 v[16:17], v[6:7], v[0:1], v[4:5]
	v_mul_f64_e32 v[0:1], v[8:9], v[0:1]
	v_fma_f64 v[18:19], v[6:7], v[2:3], -v[0:1]
	scratch_load_b128 v[6:9], off, off offset:1312 th:TH_LOAD_LU ; 16-byte Folded Reload
	ds_load_b128 v[0:3], v150 offset:9600
	s_wait_loadcnt_dscnt 0x0
	v_mul_f64_e32 v[4:5], v[8:9], v[2:3]
	s_delay_alu instid0(VALU_DEP_1) | instskip(SKIP_1) | instid1(VALU_DEP_1)
	v_fma_f64 v[20:21], v[6:7], v[0:1], v[4:5]
	v_mul_f64_e32 v[0:1], v[8:9], v[0:1]
	v_fma_f64 v[22:23], v[6:7], v[2:3], -v[0:1]
	;; [unrolled: 8-line block ×5, first 2 shown]
	scratch_load_b128 v[6:9], off, off offset:1360 th:TH_LOAD_LU ; 16-byte Folded Reload
	ds_load_b128 v[0:3], v150 offset:28800
	s_wait_loadcnt_dscnt 0x0
	v_mul_f64_e32 v[4:5], v[8:9], v[2:3]
	s_delay_alu instid0(VALU_DEP_1) | instskip(SKIP_1) | instid1(VALU_DEP_2)
	v_fma_f64 v[140:141], v[6:7], v[0:1], v[4:5]
	v_mul_f64_e32 v[0:1], v[8:9], v[0:1]
	v_add_f64_e64 v[88:89], v[132:133], -v[140:141]
	s_delay_alu instid0(VALU_DEP_2)
	v_fma_f64 v[142:143], v[6:7], v[2:3], -v[0:1]
	scratch_load_b128 v[6:9], off, off offset:1376 th:TH_LOAD_LU ; 16-byte Folded Reload
	ds_load_b128 v[0:3], v150 offset:33600
	v_add_f64_e64 v[84:85], v[134:135], -v[142:143]
	s_wait_loadcnt_dscnt 0x0
	v_mul_f64_e32 v[4:5], v[8:9], v[2:3]
	s_delay_alu instid0(VALU_DEP_1) | instskip(SKIP_1) | instid1(VALU_DEP_2)
	v_fma_f64 v[144:145], v[6:7], v[0:1], v[4:5]
	v_mul_f64_e32 v[0:1], v[8:9], v[0:1]
	v_add_f64_e64 v[74:75], v[136:137], -v[144:145]
	s_delay_alu instid0(VALU_DEP_2)
	v_fma_f64 v[146:147], v[6:7], v[2:3], -v[0:1]
	scratch_load_b128 v[6:9], off, off offset:1392 th:TH_LOAD_LU ; 16-byte Folded Reload
	ds_load_b128 v[0:3], v150 offset:38400
	v_add_f64_e64 v[76:77], v[138:139], -v[146:147]
	;; [unrolled: 11-line block ×4, first 2 shown]
	s_wait_loadcnt_dscnt 0x0
	v_mul_f64_e32 v[4:5], v[8:9], v[2:3]
	s_delay_alu instid0(VALU_DEP_1) | instskip(SKIP_1) | instid1(VALU_DEP_1)
	v_fma_f64 v[128:129], v[6:7], v[0:1], v[4:5]
	v_mul_f64_e32 v[0:1], v[8:9], v[0:1]
	v_fma_f64 v[124:125], v[6:7], v[2:3], -v[0:1]
	scratch_load_b128 v[6:9], off, off offset:1440 th:TH_LOAD_LU ; 16-byte Folded Reload
	ds_load_b128 v[0:3], v150 offset:11200
	s_wait_loadcnt_dscnt 0x0
	v_mul_f64_e32 v[4:5], v[8:9], v[2:3]
	s_delay_alu instid0(VALU_DEP_1) | instskip(SKIP_1) | instid1(VALU_DEP_1)
	v_fma_f64 v[126:127], v[6:7], v[0:1], v[4:5]
	v_mul_f64_e32 v[0:1], v[8:9], v[0:1]
	v_fma_f64 v[120:121], v[6:7], v[2:3], -v[0:1]
	scratch_load_b128 v[6:9], off, off offset:1456 th:TH_LOAD_LU ; 16-byte Folded Reload
	ds_load_b128 v[0:3], v150 offset:16000
	;; [unrolled: 8-line block ×4, first 2 shown]
	s_wait_loadcnt_dscnt 0x0
	v_mul_f64_e32 v[4:5], v[8:9], v[2:3]
	s_delay_alu instid0(VALU_DEP_1) | instskip(SKIP_1) | instid1(VALU_DEP_1)
	v_fma_f64 v[114:115], v[6:7], v[0:1], v[4:5]
	v_mul_f64_e32 v[0:1], v[8:9], v[0:1]
	v_fma_f64 v[108:109], v[6:7], v[2:3], -v[0:1]
	ds_load_b128 v[0:3], v150 offset:30400
	v_add_f64_e32 v[6:7], v[18:19], v[130:131]
	s_wait_dscnt 0x0
	v_mul_f64_e32 v[4:5], v[254:255], v[2:3]
	s_delay_alu instid0(VALU_DEP_2) | instskip(NEXT) | instid1(VALU_DEP_2)
	v_add_f64_e32 v[6:7], v[6:7], v[138:139]
	v_fma_f64 v[110:111], v[252:253], v[0:1], v[4:5]
	v_mul_f64_e32 v[0:1], v[254:255], v[0:1]
	s_delay_alu instid0(VALU_DEP_3) | instskip(NEXT) | instid1(VALU_DEP_3)
	v_add_f64_e32 v[6:7], v[6:7], v[146:147]
	v_add_f64_e64 v[171:172], v[118:119], -v[110:111]
	s_delay_alu instid0(VALU_DEP_3)
	v_fma_f64 v[104:105], v[252:253], v[2:3], -v[0:1]
	ds_load_b128 v[0:3], v150 offset:35200
	v_add_f64_e32 v[10:11], v[6:7], v[155:156]
	s_wait_dscnt 0x0
	v_mul_f64_e32 v[4:5], v[242:243], v[2:3]
	v_add_f64_e64 v[167:168], v[112:113], -v[104:105]
	s_delay_alu instid0(VALU_DEP_2) | instskip(SKIP_1) | instid1(VALU_DEP_1)
	v_fma_f64 v[106:107], v[240:241], v[0:1], v[4:5]
	v_mul_f64_e32 v[0:1], v[242:243], v[0:1]
	v_fma_f64 v[100:101], v[240:241], v[2:3], -v[0:1]
	ds_load_b128 v[0:3], v150 offset:40000
	s_wait_dscnt 0x0
	v_mul_f64_e32 v[4:5], v[246:247], v[2:3]
	s_delay_alu instid0(VALU_DEP_1) | instskip(SKIP_1) | instid1(VALU_DEP_2)
	v_fma_f64 v[102:103], v[244:245], v[0:1], v[4:5]
	v_mul_f64_e32 v[0:1], v[246:247], v[0:1]
	v_add_f64_e64 v[169:170], v[126:127], -v[102:103]
	s_delay_alu instid0(VALU_DEP_2) | instskip(SKIP_4) | instid1(VALU_DEP_2)
	v_fma_f64 v[96:97], v[244:245], v[2:3], -v[0:1]
	ds_load_b128 v[0:3], v150 offset:44800
	s_wait_dscnt 0x0
	v_mul_f64_e32 v[4:5], v[238:239], v[2:3]
	v_add_f64_e64 v[165:166], v[120:121], -v[96:97]
	v_fma_f64 v[98:99], v[236:237], v[0:1], v[4:5]
	v_mul_f64_e32 v[0:1], v[238:239], v[0:1]
	s_delay_alu instid0(VALU_DEP_1) | instskip(SKIP_3) | instid1(VALU_DEP_1)
	v_fma_f64 v[92:93], v[236:237], v[2:3], -v[0:1]
	ds_load_b128 v[0:3], v150 offset:8000
	s_wait_dscnt 0x0
	v_mul_f64_e32 v[4:5], v[234:235], v[2:3]
	v_fma_f64 v[24:25], v[232:233], v[0:1], v[4:5]
	v_mul_f64_e32 v[0:1], v[234:235], v[0:1]
	s_delay_alu instid0(VALU_DEP_1) | instskip(SKIP_3) | instid1(VALU_DEP_1)
	v_fma_f64 v[26:27], v[232:233], v[2:3], -v[0:1]
	ds_load_b128 v[0:3], v150 offset:12800
	s_wait_dscnt 0x0
	v_mul_f64_e32 v[4:5], v[230:231], v[2:3]
	;; [unrolled: 7-line block ×9, first 2 shown]
	v_fma_f64 v[56:57], v[216:217], v[0:1], v[4:5]
	v_mul_f64_e32 v[0:1], v[218:219], v[0:1]
	v_add_f64_e32 v[4:5], v[132:133], v[140:141]
	s_delay_alu instid0(VALU_DEP_2) | instskip(SKIP_4) | instid1(VALU_DEP_1)
	v_fma_f64 v[58:59], v[216:217], v[2:3], -v[0:1]
	ds_load_b128 v[0:3], v150
	s_wait_dscnt 0x0
	v_fma_f64 v[60:61], v[4:5], -0.5, v[0:1]
	v_add_f64_e32 v[4:5], v[20:21], v[148:149]
	v_fma_f64 v[157:158], v[4:5], -0.5, v[0:1]
	v_add_f64_e32 v[4:5], v[134:135], v[142:143]
	v_add_f64_e32 v[0:1], v[0:1], v[20:21]
	s_delay_alu instid0(VALU_DEP_2) | instskip(SKIP_1) | instid1(VALU_DEP_3)
	v_fma_f64 v[62:63], v[4:5], -0.5, v[2:3]
	v_add_f64_e32 v[4:5], v[22:23], v[151:152]
	v_add_f64_e32 v[0:1], v[0:1], v[132:133]
	s_delay_alu instid0(VALU_DEP_2) | instskip(SKIP_2) | instid1(VALU_DEP_4)
	v_fma_f64 v[159:160], v[4:5], -0.5, v[2:3]
	v_add_f64_e32 v[2:3], v[2:3], v[22:23]
	v_add_f64_e32 v[4:5], v[16:17], v[94:95]
	;; [unrolled: 1-line block ×3, first 2 shown]
	s_delay_alu instid0(VALU_DEP_3) | instskip(NEXT) | instid1(VALU_DEP_3)
	v_add_f64_e32 v[2:3], v[2:3], v[134:135]
	v_add_f64_e32 v[4:5], v[4:5], v[136:137]
	s_delay_alu instid0(VALU_DEP_3) | instskip(NEXT) | instid1(VALU_DEP_3)
	v_add_f64_e32 v[0:1], v[0:1], v[148:149]
	v_add_f64_e32 v[2:3], v[2:3], v[142:143]
	s_delay_alu instid0(VALU_DEP_3) | instskip(NEXT) | instid1(VALU_DEP_2)
	v_add_f64_e32 v[4:5], v[4:5], v[144:145]
	v_add_f64_e32 v[2:3], v[2:3], v[151:152]
	s_delay_alu instid0(VALU_DEP_2) | instskip(NEXT) | instid1(VALU_DEP_2)
	v_add_f64_e32 v[8:9], v[4:5], v[153:154]
	v_add_f64_e32 v[6:7], v[2:3], v[10:11]
	s_delay_alu instid0(VALU_DEP_2)
	v_add_f64_e32 v[4:5], v[0:1], v[8:9]
	v_add_f64_e64 v[0:1], v[0:1], -v[8:9]
	v_add_f64_e64 v[2:3], v[2:3], -v[10:11]
	;; [unrolled: 1-line block ×7, first 2 shown]
	s_delay_alu instid0(VALU_DEP_4)
	v_add_f64_e32 v[64:65], v[8:9], v[10:11]
	v_add_f64_e64 v[8:9], v[22:23], -v[134:135]
	v_add_f64_e64 v[10:11], v[151:152], -v[142:143]
	;; [unrolled: 1-line block ×5, first 2 shown]
	v_add_f64_e32 v[132:133], v[20:21], v[132:133]
	v_add_f64_e32 v[66:67], v[8:9], v[10:11]
	v_add_f64_e64 v[8:9], v[94:95], -v[136:137]
	v_add_f64_e64 v[10:11], v[153:154], -v[144:145]
	v_add_f64_e32 v[134:135], v[22:23], v[134:135]
	s_delay_alu instid0(VALU_DEP_2) | instskip(SKIP_2) | instid1(VALU_DEP_1)
	v_add_f64_e32 v[68:69], v[8:9], v[10:11]
	v_add_f64_e64 v[8:9], v[130:131], -v[138:139]
	v_add_f64_e64 v[10:11], v[155:156], -v[146:147]
	v_add_f64_e32 v[70:71], v[8:9], v[10:11]
	v_add_f64_e32 v[8:9], v[136:137], v[144:145]
	v_add_f64_e64 v[136:137], v[136:137], -v[94:95]
	v_add_f64_e32 v[94:95], v[94:95], v[153:154]
	s_delay_alu instid0(VALU_DEP_3)
	v_fma_f64 v[72:73], v[8:9], -0.5, v[16:17]
	v_add_f64_e32 v[8:9], v[138:139], v[146:147]
	v_add_f64_e64 v[138:139], v[138:139], -v[130:131]
	v_add_f64_e32 v[130:131], v[130:131], v[155:156]
	v_fma_f64 v[94:95], v[94:95], -0.5, v[16:17]
	v_add_f64_e32 v[136:137], v[136:137], v[140:141]
	v_fma_f64 v[10:11], v[82:83], s[18:19], v[72:73]
	v_fma_f64 v[78:79], v[8:9], -0.5, v[18:19]
	v_add_f64_e32 v[138:139], v[138:139], v[142:143]
	v_fma_f64 v[130:131], v[130:131], -0.5, v[18:19]
	v_fma_f64 v[18:19], v[76:77], s[16:17], v[94:95]
	v_fma_f64 v[94:95], v[76:77], s[18:19], v[94:95]
	v_fma_f64 v[72:73], v[82:83], s[16:17], v[72:73]
	v_fma_f64 v[10:11], v[76:77], s[12:13], v[10:11]
	v_fma_f64 v[8:9], v[80:81], s[16:17], v[78:79]
	v_fma_f64 v[78:79], v[80:81], s[18:19], v[78:79]
	v_fma_f64 v[16:17], v[74:75], s[18:19], v[130:131]
	v_fma_f64 v[18:19], v[82:83], s[12:13], v[18:19]
	v_fma_f64 v[94:95], v[82:83], s[2:3], v[94:95]
	v_fma_f64 v[72:73], v[76:77], s[2:3], v[72:73]
	v_fma_f64 v[10:11], v[68:69], s[14:15], v[10:11]
	v_fma_f64 v[8:9], v[74:75], s[2:3], v[8:9]
	v_fma_f64 v[16:17], v[80:81], s[2:3], v[16:17]
	v_fma_f64 v[18:19], v[136:137], s[14:15], v[18:19]
	v_fma_f64 v[136:137], v[136:137], s[14:15], v[94:95]
	v_fma_f64 v[94:95], v[74:75], s[16:17], v[130:131]
	v_fma_f64 v[74:75], v[74:75], s[12:13], v[78:79]
	v_fma_f64 v[130:131], v[88:89], s[16:17], v[159:160]
	v_fma_f64 v[8:9], v[70:71], s[14:15], v[8:9]
	v_fma_f64 v[16:17], v[138:139], s[14:15], v[16:17]
	v_fma_f64 v[94:95], v[80:81], s[12:13], v[94:95]
	v_fma_f64 v[70:71], v[70:71], s[14:15], v[74:75]
	v_fma_f64 v[130:131], v[90:91], s[12:13], v[130:131]
	v_add_f64_e32 v[74:75], v[124:125], v[116:117]
	v_mul_f64_e32 v[12:13], s[12:13], v[8:9]
	v_mul_f64_e32 v[8:9], s[20:21], v[8:9]
	;; [unrolled: 1-line block ×4, first 2 shown]
	v_fma_f64 v[138:139], v[138:139], s[14:15], v[94:95]
	v_fma_f64 v[94:95], v[84:85], s[18:19], v[157:158]
	;; [unrolled: 1-line block ×3, first 2 shown]
	v_add_f64_e32 v[74:75], v[74:75], v[108:109]
	v_fma_f64 v[161:162], v[10:11], s[20:21], v[12:13]
	v_fma_f64 v[10:11], v[10:11], s[2:3], v[8:9]
	;; [unrolled: 1-line block ×11, first 2 shown]
	v_add_f64_e32 v[74:75], v[74:75], v[100:101]
	v_add_f64_e64 v[157:158], v[122:123], -v[98:99]
	v_add_f64_e64 v[159:160], v[114:115], -v[106:107]
	v_fma_f64 v[8:9], v[84:85], s[12:13], v[8:9]
	v_fma_f64 v[12:13], v[88:89], s[2:3], v[12:13]
	;; [unrolled: 1-line block ×4, first 2 shown]
	v_add_f64_e64 v[88:89], v[112:113], -v[120:121]
	v_fma_f64 v[16:17], v[86:87], s[12:13], v[16:17]
	v_fma_f64 v[20:21], v[90:91], s[2:3], v[20:21]
	;; [unrolled: 1-line block ×3, first 2 shown]
	v_add_f64_e32 v[74:75], v[74:75], v[92:93]
	v_add_f64_e64 v[90:91], v[104:105], -v[96:97]
	v_fma_f64 v[8:9], v[64:65], s[14:15], v[8:9]
	v_fma_f64 v[163:164], v[66:67], s[14:15], v[12:13]
	;; [unrolled: 1-line block ×5, first 2 shown]
	v_mul_f64_e32 v[62:63], s[12:13], v[70:71]
	v_mul_f64_e32 v[68:69], s[22:23], v[70:71]
	v_fma_f64 v[16:17], v[132:133], s[14:15], v[16:17]
	v_mul_f64_e32 v[132:133], s[18:19], v[138:139]
	v_mul_f64_e32 v[138:139], s[24:25], v[138:139]
	v_fma_f64 v[142:143], v[134:135], s[14:15], v[20:21]
	v_add_f64_e32 v[72:73], v[118:119], v[110:111]
	v_add_f64_e32 v[12:13], v[8:9], v[161:162]
	v_add_f64_e64 v[8:9], v[8:9], -v[161:162]
	v_add_f64_e64 v[161:162], v[116:117], -v[92:93]
	v_add_f64_e32 v[14:15], v[163:164], v[10:11]
	v_add_f64_e64 v[10:11], v[163:164], -v[10:11]
	v_fma_f64 v[70:71], v[60:61], s[22:23], v[62:63]
	v_fma_f64 v[68:69], v[60:61], s[2:3], v[68:69]
	v_add_f64_e32 v[20:21], v[16:17], v[140:141]
	v_fma_f64 v[134:135], v[136:137], s[24:25], v[132:133]
	v_fma_f64 v[132:133], v[136:137], s[16:17], v[138:139]
	v_add_f64_e32 v[22:23], v[142:143], v[18:19]
	v_add_f64_e64 v[18:19], v[142:143], -v[18:19]
	v_add_f64_e64 v[16:17], v[16:17], -v[140:141]
	;; [unrolled: 1-line block ×3, first 2 shown]
	v_add_f64_e32 v[60:61], v[64:65], v[70:71]
	v_add_f64_e32 v[62:63], v[66:67], v[68:69]
	v_add_f64_e64 v[64:65], v[64:65], -v[70:71]
	v_add_f64_e64 v[66:67], v[66:67], -v[68:69]
	ds_load_b128 v[68:71], v150 offset:1600
	v_add_f64_e32 v[138:139], v[130:131], v[132:133]
	v_add_f64_e64 v[142:143], v[130:131], -v[132:133]
	v_add_f64_e32 v[136:137], v[94:95], v[134:135]
	v_add_f64_e64 v[140:141], v[94:95], -v[134:135]
	s_wait_dscnt 0x0
	v_fma_f64 v[130:131], v[72:73], -0.5, v[68:69]
	v_add_f64_e32 v[72:73], v[126:127], v[102:103]
	s_delay_alu instid0(VALU_DEP_1) | instskip(SKIP_2) | instid1(VALU_DEP_2)
	v_fma_f64 v[94:95], v[72:73], -0.5, v[68:69]
	v_add_f64_e32 v[72:73], v[112:113], v[104:105]
	v_add_f64_e32 v[68:69], v[68:69], v[126:127]
	v_fma_f64 v[132:133], v[72:73], -0.5, v[70:71]
	v_add_f64_e32 v[72:73], v[120:121], v[96:97]
	s_delay_alu instid0(VALU_DEP_3) | instskip(NEXT) | instid1(VALU_DEP_2)
	v_add_f64_e32 v[68:69], v[68:69], v[118:119]
	v_fma_f64 v[134:135], v[72:73], -0.5, v[70:71]
	v_add_f64_e32 v[70:71], v[70:71], v[120:121]
	v_add_f64_e32 v[72:73], v[128:129], v[122:123]
	s_delay_alu instid0(VALU_DEP_4) | instskip(NEXT) | instid1(VALU_DEP_3)
	v_add_f64_e32 v[68:69], v[68:69], v[110:111]
	v_add_f64_e32 v[70:71], v[70:71], v[112:113]
	s_delay_alu instid0(VALU_DEP_3) | instskip(NEXT) | instid1(VALU_DEP_3)
	v_add_f64_e32 v[72:73], v[72:73], v[114:115]
	v_add_f64_e32 v[76:77], v[68:69], v[102:103]
	s_delay_alu instid0(VALU_DEP_3) | instskip(NEXT) | instid1(VALU_DEP_3)
	v_add_f64_e32 v[70:71], v[70:71], v[104:105]
	v_add_f64_e32 v[72:73], v[72:73], v[106:107]
	s_delay_alu instid0(VALU_DEP_2) | instskip(NEXT) | instid1(VALU_DEP_2)
	v_add_f64_e32 v[78:79], v[70:71], v[96:97]
	v_add_f64_e32 v[72:73], v[72:73], v[98:99]
	s_delay_alu instid0(VALU_DEP_2) | instskip(NEXT) | instid1(VALU_DEP_2)
	v_add_f64_e32 v[70:71], v[78:79], v[74:75]
	v_add_f64_e32 v[68:69], v[76:77], v[72:73]
	v_add_f64_e64 v[72:73], v[76:77], -v[72:73]
	v_add_f64_e64 v[74:75], v[78:79], -v[74:75]
	;; [unrolled: 1-line block ×4, first 2 shown]
	s_delay_alu instid0(VALU_DEP_1)
	v_add_f64_e32 v[144:145], v[76:77], v[78:79]
	v_add_f64_e64 v[76:77], v[120:121], -v[112:113]
	v_add_f64_e64 v[78:79], v[96:97], -v[104:105]
	;; [unrolled: 1-line block ×4, first 2 shown]
	v_add_f64_e32 v[112:113], v[36:37], v[44:45]
	s_delay_alu instid0(VALU_DEP_4) | instskip(SKIP_2) | instid1(VALU_DEP_1)
	v_add_f64_e32 v[146:147], v[76:77], v[78:79]
	v_add_f64_e64 v[76:77], v[122:123], -v[114:115]
	v_add_f64_e64 v[78:79], v[98:99], -v[106:107]
	v_add_f64_e32 v[148:149], v[76:77], v[78:79]
	v_add_f64_e64 v[76:77], v[116:117], -v[108:109]
	v_add_f64_e64 v[78:79], v[92:93], -v[100:101]
	s_delay_alu instid0(VALU_DEP_1) | instskip(SKIP_2) | instid1(VALU_DEP_2)
	v_add_f64_e32 v[151:152], v[76:77], v[78:79]
	v_add_f64_e32 v[76:77], v[114:115], v[106:107]
	;; [unrolled: 1-line block ×3, first 2 shown]
	v_fma_f64 v[153:154], v[76:77], -0.5, v[128:129]
	v_add_f64_e32 v[76:77], v[108:109], v[100:101]
	v_add_f64_e32 v[108:109], v[88:89], v[90:91]
	s_delay_alu instid0(VALU_DEP_4) | instskip(NEXT) | instid1(VALU_DEP_4)
	v_add_f64_e32 v[114:115], v[114:115], v[42:43]
	v_fma_f64 v[78:79], v[161:162], s[18:19], v[153:154]
	s_delay_alu instid0(VALU_DEP_4) | instskip(NEXT) | instid1(VALU_DEP_3)
	v_fma_f64 v[155:156], v[76:77], -0.5, v[124:125]
	v_add_f64_e32 v[114:115], v[114:115], v[50:51]
	s_delay_alu instid0(VALU_DEP_3) | instskip(NEXT) | instid1(VALU_DEP_3)
	v_fma_f64 v[78:79], v[163:164], s[12:13], v[78:79]
	v_fma_f64 v[76:77], v[157:158], s[16:17], v[155:156]
	s_delay_alu instid0(VALU_DEP_3) | instskip(NEXT) | instid1(VALU_DEP_3)
	v_add_f64_e32 v[114:115], v[114:115], v[58:59]
	v_fma_f64 v[78:79], v[148:149], s[14:15], v[78:79]
	s_delay_alu instid0(VALU_DEP_3) | instskip(NEXT) | instid1(VALU_DEP_1)
	v_fma_f64 v[76:77], v[159:160], s[2:3], v[76:77]
	v_fma_f64 v[76:77], v[151:152], s[14:15], v[76:77]
	s_delay_alu instid0(VALU_DEP_1) | instskip(SKIP_1) | instid1(VALU_DEP_2)
	v_mul_f64_e32 v[80:81], s[12:13], v[76:77]
	v_mul_f64_e32 v[76:77], s[20:21], v[76:77]
	v_fma_f64 v[80:81], v[78:79], s[20:21], v[80:81]
	s_delay_alu instid0(VALU_DEP_2) | instskip(SKIP_2) | instid1(VALU_DEP_2)
	v_fma_f64 v[82:83], v[78:79], s[2:3], v[76:77]
	v_fma_f64 v[78:79], v[169:170], s[16:17], v[132:133]
	;; [unrolled: 1-line block ×4, first 2 shown]
	s_delay_alu instid0(VALU_DEP_2) | instskip(NEXT) | instid1(VALU_DEP_2)
	v_fma_f64 v[76:77], v[167:168], s[12:13], v[76:77]
	v_fma_f64 v[86:87], v[146:147], s[14:15], v[78:79]
	s_delay_alu instid0(VALU_DEP_2) | instskip(NEXT) | instid1(VALU_DEP_2)
	v_fma_f64 v[84:85], v[144:145], s[14:15], v[76:77]
	v_add_f64_e32 v[78:79], v[86:87], v[82:83]
	v_add_f64_e64 v[82:83], v[86:87], -v[82:83]
	v_add_f64_e64 v[86:87], v[110:111], -v[102:103]
	v_add_f64_e32 v[102:103], v[122:123], v[98:99]
	v_add_f64_e64 v[98:99], v[106:107], -v[98:99]
	v_add_f64_e32 v[106:107], v[116:117], v[92:93]
	v_add_f64_e32 v[76:77], v[84:85], v[80:81]
	v_add_f64_e64 v[80:81], v[84:85], -v[80:81]
	v_add_f64_e64 v[84:85], v[118:119], -v[126:127]
	;; [unrolled: 1-line block ×3, first 2 shown]
	v_fma_f64 v[102:103], v[102:103], -0.5, v[128:129]
	v_add_f64_e32 v[96:97], v[96:97], v[98:99]
	v_fma_f64 v[100:101], v[106:107], -0.5, v[124:125]
	v_add_f64_e32 v[106:107], v[84:85], v[86:87]
	v_add_f64_e32 v[92:93], v[104:105], v[92:93]
	v_fma_f64 v[86:87], v[163:164], s[16:17], v[102:103]
	s_delay_alu instid0(VALU_DEP_4) | instskip(NEXT) | instid1(VALU_DEP_2)
	v_fma_f64 v[84:85], v[159:160], s[18:19], v[100:101]
	v_fma_f64 v[86:87], v[161:162], s[12:13], v[86:87]
	s_delay_alu instid0(VALU_DEP_2) | instskip(NEXT) | instid1(VALU_DEP_2)
	v_fma_f64 v[84:85], v[157:158], s[2:3], v[84:85]
	v_fma_f64 v[86:87], v[96:97], s[14:15], v[86:87]
	s_delay_alu instid0(VALU_DEP_2) | instskip(NEXT) | instid1(VALU_DEP_1)
	v_fma_f64 v[84:85], v[92:93], s[14:15], v[84:85]
	v_mul_f64_e32 v[88:89], s[18:19], v[84:85]
	v_mul_f64_e32 v[84:85], s[14:15], v[84:85]
	s_delay_alu instid0(VALU_DEP_2) | instskip(NEXT) | instid1(VALU_DEP_2)
	v_fma_f64 v[88:89], v[86:87], s[14:15], v[88:89]
	v_fma_f64 v[90:91], v[86:87], s[16:17], v[84:85]
	;; [unrolled: 1-line block ×5, first 2 shown]
	s_delay_alu instid0(VALU_DEP_3) | instskip(NEXT) | instid1(VALU_DEP_3)
	v_fma_f64 v[84:85], v[165:166], s[12:13], v[84:85]
	v_fma_f64 v[94:95], v[165:166], s[2:3], v[94:95]
	s_delay_alu instid0(VALU_DEP_3) | instskip(NEXT) | instid1(VALU_DEP_3)
	v_fma_f64 v[86:87], v[169:170], s[2:3], v[86:87]
	v_fma_f64 v[98:99], v[106:107], s[14:15], v[84:85]
	s_delay_alu instid0(VALU_DEP_2) | instskip(NEXT) | instid1(VALU_DEP_2)
	v_fma_f64 v[104:105], v[108:109], s[14:15], v[86:87]
	v_add_f64_e32 v[84:85], v[98:99], v[88:89]
	v_add_f64_e64 v[88:89], v[98:99], -v[88:89]
	v_fma_f64 v[98:99], v[106:107], s[14:15], v[94:95]
	v_fma_f64 v[94:95], v[171:172], s[16:17], v[134:135]
	v_add_f64_e32 v[86:87], v[104:105], v[90:91]
	v_add_f64_e64 v[90:91], v[104:105], -v[90:91]
	v_fma_f64 v[106:107], v[161:162], s[16:17], v[153:154]
	v_add_f64_e64 v[153:154], v[28:29], -v[56:57]
	v_fma_f64 v[94:95], v[169:170], s[12:13], v[94:95]
	s_delay_alu instid0(VALU_DEP_3) | instskip(NEXT) | instid1(VALU_DEP_2)
	v_fma_f64 v[106:107], v[163:164], s[2:3], v[106:107]
	v_fma_f64 v[104:105], v[108:109], s[14:15], v[94:95]
	;; [unrolled: 1-line block ×3, first 2 shown]
	s_delay_alu instid0(VALU_DEP_1) | instskip(NEXT) | instid1(VALU_DEP_1)
	v_fma_f64 v[94:95], v[157:158], s[12:13], v[94:95]
	v_fma_f64 v[92:93], v[92:93], s[14:15], v[94:95]
	;; [unrolled: 1-line block ×4, first 2 shown]
	v_add_f64_e64 v[163:164], v[38:39], -v[46:47]
	v_add_f64_e64 v[165:166], v[30:31], -v[52:53]
	s_delay_alu instid0(VALU_DEP_4) | instskip(NEXT) | instid1(VALU_DEP_4)
	v_fma_f64 v[94:95], v[161:162], s[2:3], v[94:95]
	v_fma_f64 v[102:103], v[167:168], s[2:3], v[102:103]
	v_add_f64_e64 v[161:162], v[32:33], -v[54:55]
	v_add_f64_e64 v[167:168], v[36:37], -v[44:45]
	s_delay_alu instid0(VALU_DEP_4) | instskip(SKIP_4) | instid1(VALU_DEP_4)
	v_fma_f64 v[94:95], v[96:97], s[14:15], v[94:95]
	v_mul_f64_e32 v[96:97], s[18:19], v[92:93]
	v_mul_f64_e32 v[92:93], s[24:25], v[92:93]
	v_fma_f64 v[108:109], v[144:145], s[14:15], v[102:103]
	v_fma_f64 v[102:103], v[148:149], s[14:15], v[106:107]
	;; [unrolled: 1-line block ×3, first 2 shown]
	s_delay_alu instid0(VALU_DEP_4) | instskip(NEXT) | instid1(VALU_DEP_2)
	v_fma_f64 v[100:101], v[94:95], s[16:17], v[92:93]
	v_add_f64_e32 v[92:93], v[98:99], v[96:97]
	s_delay_alu instid0(VALU_DEP_2)
	v_add_f64_e32 v[94:95], v[104:105], v[100:101]
	v_add_f64_e64 v[96:97], v[98:99], -v[96:97]
	v_add_f64_e64 v[98:99], v[104:105], -v[100:101]
	v_fma_f64 v[100:101], v[157:158], s[18:19], v[155:156]
	v_fma_f64 v[104:105], v[169:170], s[18:19], v[132:133]
	v_add_f64_e64 v[157:158], v[34:35], -v[58:59]
	v_add_f64_e64 v[155:156], v[40:41], -v[48:49]
	s_delay_alu instid0(VALU_DEP_4) | instskip(NEXT) | instid1(VALU_DEP_4)
	v_fma_f64 v[100:101], v[159:160], s[12:13], v[100:101]
	v_fma_f64 v[104:105], v[171:172], s[12:13], v[104:105]
	v_add_f64_e64 v[159:160], v[42:43], -v[50:51]
	s_delay_alu instid0(VALU_DEP_3) | instskip(NEXT) | instid1(VALU_DEP_3)
	v_fma_f64 v[100:101], v[151:152], s[14:15], v[100:101]
	v_fma_f64 v[110:111], v[146:147], s[14:15], v[104:105]
	s_delay_alu instid0(VALU_DEP_2) | instskip(SKIP_1) | instid1(VALU_DEP_2)
	v_mul_f64_e32 v[104:105], s[12:13], v[100:101]
	v_mul_f64_e32 v[100:101], s[22:23], v[100:101]
	v_fma_f64 v[104:105], v[102:103], s[22:23], v[104:105]
	s_delay_alu instid0(VALU_DEP_2) | instskip(NEXT) | instid1(VALU_DEP_2)
	v_fma_f64 v[106:107], v[102:103], s[2:3], v[100:101]
	v_add_f64_e32 v[100:101], v[108:109], v[104:105]
	s_delay_alu instid0(VALU_DEP_2)
	v_add_f64_e32 v[102:103], v[110:111], v[106:107]
	v_add_f64_e64 v[104:105], v[108:109], -v[104:105]
	v_add_f64_e64 v[106:107], v[110:111], -v[106:107]
	ds_load_b128 v[108:111], v150 offset:3200
	s_wait_dscnt 0x0
	v_fma_f64 v[124:125], v[112:113], -0.5, v[108:109]
	v_add_f64_e32 v[112:113], v[30:31], v[52:53]
	s_delay_alu instid0(VALU_DEP_1) | instskip(SKIP_2) | instid1(VALU_DEP_2)
	v_fma_f64 v[126:127], v[112:113], -0.5, v[108:109]
	v_add_f64_e32 v[112:113], v[38:39], v[46:47]
	v_add_f64_e32 v[108:109], v[108:109], v[30:31]
	v_fma_f64 v[128:129], v[112:113], -0.5, v[110:111]
	v_add_f64_e32 v[112:113], v[32:33], v[54:55]
	s_delay_alu instid0(VALU_DEP_3) | instskip(NEXT) | instid1(VALU_DEP_2)
	v_add_f64_e32 v[108:109], v[108:109], v[36:37]
	v_fma_f64 v[130:131], v[112:113], -0.5, v[110:111]
	v_add_f64_e32 v[110:111], v[110:111], v[32:33]
	v_add_f64_e32 v[112:113], v[24:25], v[28:29]
	s_delay_alu instid0(VALU_DEP_4) | instskip(NEXT) | instid1(VALU_DEP_3)
	v_add_f64_e32 v[108:109], v[108:109], v[44:45]
	v_add_f64_e32 v[110:111], v[110:111], v[38:39]
	s_delay_alu instid0(VALU_DEP_3) | instskip(NEXT) | instid1(VALU_DEP_3)
	v_add_f64_e32 v[112:113], v[112:113], v[40:41]
	v_add_f64_e32 v[116:117], v[108:109], v[52:53]
	s_delay_alu instid0(VALU_DEP_3) | instskip(NEXT) | instid1(VALU_DEP_3)
	v_add_f64_e32 v[110:111], v[110:111], v[46:47]
	v_add_f64_e32 v[112:113], v[112:113], v[48:49]
	s_delay_alu instid0(VALU_DEP_2) | instskip(NEXT) | instid1(VALU_DEP_2)
	v_add_f64_e32 v[118:119], v[110:111], v[54:55]
	v_add_f64_e32 v[112:113], v[112:113], v[56:57]
	s_delay_alu instid0(VALU_DEP_2) | instskip(NEXT) | instid1(VALU_DEP_2)
	v_add_f64_e32 v[110:111], v[118:119], v[114:115]
	v_add_f64_e32 v[108:109], v[116:117], v[112:113]
	v_add_f64_e64 v[112:113], v[116:117], -v[112:113]
	v_add_f64_e64 v[114:115], v[118:119], -v[114:115]
	;; [unrolled: 1-line block ×7, first 2 shown]
	s_delay_alu instid0(VALU_DEP_4)
	v_add_f64_e32 v[132:133], v[116:117], v[118:119]
	v_add_f64_e64 v[116:117], v[32:33], -v[38:39]
	v_add_f64_e64 v[118:119], v[54:55], -v[46:47]
	;; [unrolled: 1-line block ×5, first 2 shown]
	v_add_f64_e32 v[36:37], v[30:31], v[36:37]
	v_add_f64_e32 v[134:135], v[116:117], v[118:119]
	v_add_f64_e64 v[116:117], v[28:29], -v[40:41]
	v_add_f64_e64 v[118:119], v[56:57], -v[48:49]
	v_add_f64_e32 v[32:33], v[32:33], v[38:39]
	s_delay_alu instid0(VALU_DEP_2) | instskip(SKIP_2) | instid1(VALU_DEP_1)
	v_add_f64_e32 v[144:145], v[116:117], v[118:119]
	v_add_f64_e64 v[116:117], v[34:35], -v[42:43]
	v_add_f64_e64 v[118:119], v[58:59], -v[50:51]
	v_add_f64_e32 v[146:147], v[116:117], v[118:119]
	v_add_f64_e32 v[116:117], v[40:41], v[48:49]
	v_add_f64_e64 v[40:41], v[40:41], -v[28:29]
	v_add_f64_e32 v[28:29], v[28:29], v[56:57]
	s_delay_alu instid0(VALU_DEP_3)
	v_fma_f64 v[148:149], v[116:117], -0.5, v[24:25]
	v_add_f64_e32 v[116:117], v[42:43], v[50:51]
	v_add_f64_e64 v[42:43], v[42:43], -v[34:35]
	v_add_f64_e32 v[34:35], v[34:35], v[58:59]
	v_fma_f64 v[38:39], v[28:29], -0.5, v[24:25]
	v_add_f64_e32 v[40:41], v[40:41], v[46:47]
	v_fma_f64 v[118:119], v[157:158], s[18:19], v[148:149]
	v_fma_f64 v[151:152], v[116:117], -0.5, v[26:27]
	v_add_f64_e32 v[42:43], v[42:43], v[44:45]
	v_fma_f64 v[34:35], v[34:35], -0.5, v[26:27]
	v_fma_f64 v[26:27], v[159:160], s[16:17], v[38:39]
	v_fma_f64 v[118:119], v[159:160], s[12:13], v[118:119]
	;; [unrolled: 1-line block ×3, first 2 shown]
	s_delay_alu instid0(VALU_DEP_4) | instskip(NEXT) | instid1(VALU_DEP_4)
	v_fma_f64 v[24:25], v[155:156], s[18:19], v[34:35]
	v_fma_f64 v[26:27], v[157:158], s[12:13], v[26:27]
	;; [unrolled: 1-line block ×8, first 2 shown]
	s_delay_alu instid0(VALU_DEP_4) | instskip(NEXT) | instid1(VALU_DEP_4)
	v_fma_f64 v[116:117], v[146:147], s[14:15], v[116:117]
	v_fma_f64 v[24:25], v[42:43], s[14:15], v[24:25]
	s_delay_alu instid0(VALU_DEP_3) | instskip(SKIP_1) | instid1(VALU_DEP_4)
	v_fma_f64 v[34:35], v[42:43], s[14:15], v[34:35]
	v_fma_f64 v[42:43], v[163:164], s[18:19], v[126:127]
	v_mul_f64_e32 v[120:121], s[12:13], v[116:117]
	v_mul_f64_e32 v[116:117], s[20:21], v[116:117]
	;; [unrolled: 1-line block ×4, first 2 shown]
	v_fma_f64 v[42:43], v[161:162], s[2:3], v[42:43]
	v_fma_f64 v[120:121], v[118:119], s[20:21], v[120:121]
	v_fma_f64 v[122:123], v[118:119], s[2:3], v[116:117]
	v_fma_f64 v[28:29], v[26:27], s[14:15], v[28:29]
	v_fma_f64 v[30:31], v[26:27], s[16:17], v[24:25]
	v_fma_f64 v[24:25], v[163:164], s[16:17], v[126:127]
	v_fma_f64 v[26:27], v[167:168], s[18:19], v[130:131]
	v_fma_f64 v[116:117], v[161:162], s[18:19], v[124:125]
	v_fma_f64 v[118:119], v[165:166], s[16:17], v[128:129]
	s_delay_alu instid0(VALU_DEP_4) | instskip(NEXT) | instid1(VALU_DEP_4)
	v_fma_f64 v[24:25], v[161:162], s[12:13], v[24:25]
	v_fma_f64 v[26:27], v[165:166], s[2:3], v[26:27]
	s_delay_alu instid0(VALU_DEP_4) | instskip(NEXT) | instid1(VALU_DEP_4)
	v_fma_f64 v[116:117], v[163:164], s[12:13], v[116:117]
	v_fma_f64 v[118:119], v[167:168], s[2:3], v[118:119]
	s_delay_alu instid0(VALU_DEP_4)
	v_fma_f64 v[44:45], v[36:37], s[14:15], v[24:25]
	v_fma_f64 v[36:37], v[36:37], s[14:15], v[42:43]
	;; [unrolled: 1-line block ×6, first 2 shown]
	v_add_f64_e32 v[24:25], v[44:45], v[28:29]
	v_add_f64_e64 v[28:29], v[44:45], -v[28:29]
	v_fma_f64 v[42:43], v[165:166], s[12:13], v[42:43]
	v_add_f64_e32 v[26:27], v[46:47], v[30:31]
	v_add_f64_e64 v[30:31], v[46:47], -v[30:31]
	v_fma_f64 v[44:45], v[165:166], s[18:19], v[128:129]
	v_fma_f64 v[46:47], v[157:158], s[16:17], v[148:149]
	v_add_f64_e32 v[116:117], v[169:170], v[120:121]
	v_add_f64_e32 v[118:119], v[171:172], v[122:123]
	v_add_f64_e64 v[120:121], v[169:170], -v[120:121]
	v_add_f64_e64 v[122:123], v[171:172], -v[122:123]
	v_fma_f64 v[42:43], v[32:33], s[14:15], v[42:43]
	v_fma_f64 v[32:33], v[159:160], s[18:19], v[38:39]
	v_mul_f64_e32 v[38:39], s[18:19], v[34:35]
	v_mul_f64_e32 v[34:35], s[24:25], v[34:35]
	v_fma_f64 v[44:45], v[167:168], s[12:13], v[44:45]
	v_fma_f64 v[46:47], v[159:160], s[2:3], v[46:47]
	;; [unrolled: 1-line block ×3, first 2 shown]
	s_delay_alu instid0(VALU_DEP_3) | instskip(NEXT) | instid1(VALU_DEP_2)
	v_fma_f64 v[50:51], v[134:135], s[14:15], v[44:45]
	v_fma_f64 v[32:33], v[40:41], s[14:15], v[32:33]
	s_delay_alu instid0(VALU_DEP_1) | instskip(SKIP_1) | instid1(VALU_DEP_2)
	v_fma_f64 v[38:39], v[32:33], s[24:25], v[38:39]
	v_fma_f64 v[40:41], v[32:33], s[16:17], v[34:35]
	v_add_f64_e32 v[32:33], v[36:37], v[38:39]
	s_delay_alu instid0(VALU_DEP_2) | instskip(SKIP_4) | instid1(VALU_DEP_2)
	v_add_f64_e32 v[34:35], v[42:43], v[40:41]
	v_add_f64_e64 v[36:37], v[36:37], -v[38:39]
	v_add_f64_e64 v[38:39], v[42:43], -v[40:41]
	v_fma_f64 v[40:41], v[153:154], s[18:19], v[151:152]
	v_fma_f64 v[42:43], v[161:162], s[16:17], v[124:125]
	;; [unrolled: 1-line block ×3, first 2 shown]
	s_delay_alu instid0(VALU_DEP_2) | instskip(NEXT) | instid1(VALU_DEP_2)
	v_fma_f64 v[42:43], v[163:164], s[2:3], v[42:43]
	v_fma_f64 v[40:41], v[146:147], s[14:15], v[40:41]
	s_delay_alu instid0(VALU_DEP_2) | instskip(SKIP_1) | instid1(VALU_DEP_3)
	v_fma_f64 v[48:49], v[132:133], s[14:15], v[42:43]
	v_fma_f64 v[42:43], v[144:145], s[14:15], v[46:47]
	v_mul_f64_e32 v[44:45], s[12:13], v[40:41]
	v_mul_f64_e32 v[40:41], s[22:23], v[40:41]
	s_delay_alu instid0(VALU_DEP_2) | instskip(NEXT) | instid1(VALU_DEP_2)
	v_fma_f64 v[44:45], v[42:43], s[22:23], v[44:45]
	v_fma_f64 v[46:47], v[42:43], s[2:3], v[40:41]
	s_mov_b32 s2, 0xc3ece2a5
	s_mov_b32 s3, 0x3f35d867
	s_delay_alu instid0(VALU_DEP_2) | instskip(NEXT) | instid1(VALU_DEP_2)
	v_add_f64_e32 v[40:41], v[48:49], v[44:45]
	v_add_f64_e32 v[42:43], v[50:51], v[46:47]
	v_add_f64_e64 v[44:45], v[48:49], -v[44:45]
	v_add_f64_e64 v[46:47], v[50:51], -v[46:47]
	ds_store_b128 v150, v[4:7]
	ds_store_b128 v150, v[12:15] offset:4800
	ds_store_b128 v150, v[20:23] offset:9600
	;; [unrolled: 1-line block ×29, first 2 shown]
	global_wb scope:SCOPE_SE
	s_wait_dscnt 0x0
	s_barrier_signal -1
	s_barrier_wait -1
	global_inv scope:SCOPE_SE
	s_clause 0x4
	scratch_load_b128 v[6:9], off, off offset:392 th:TH_LOAD_LU
	scratch_load_b128 v[30:33], off, off offset:376 th:TH_LOAD_LU
	;; [unrolled: 1-line block ×5, first 2 shown]
	ds_load_b128 v[0:3], v150
	s_clause 0x11
	scratch_load_b128 v[22:25], off, off offset:424 th:TH_LOAD_LU
	scratch_load_b128 v[26:29], off, off offset:408 th:TH_LOAD_LU
	;; [unrolled: 1-line block ×18, first 2 shown]
	s_wait_loadcnt_dscnt 0x1600
	v_mul_f64_e32 v[4:5], v[8:9], v[2:3]
	s_delay_alu instid0(VALU_DEP_1) | instskip(SKIP_1) | instid1(VALU_DEP_1)
	v_fma_f64 v[4:5], v[6:7], v[0:1], v[4:5]
	v_mul_f64_e32 v[0:1], v[8:9], v[0:1]
	v_fma_f64 v[6:7], v[6:7], v[2:3], -v[0:1]
	ds_load_b128 v[0:3], v150 offset:4800
	s_wait_loadcnt_dscnt 0x1400
	v_mul_f64_e32 v[8:9], v[12:13], v[2:3]
	s_delay_alu instid0(VALU_DEP_1) | instskip(SKIP_1) | instid1(VALU_DEP_1)
	v_fma_f64 v[8:9], v[10:11], v[0:1], v[8:9]
	v_mul_f64_e32 v[0:1], v[12:13], v[0:1]
	v_fma_f64 v[10:11], v[10:11], v[2:3], -v[0:1]
	ds_load_b128 v[0:3], v150 offset:9600
	s_wait_loadcnt_dscnt 0x1300
	v_mul_f64_e32 v[12:13], v[16:17], v[2:3]
	s_delay_alu instid0(VALU_DEP_1) | instskip(SKIP_1) | instid1(VALU_DEP_1)
	v_fma_f64 v[12:13], v[14:15], v[0:1], v[12:13]
	v_mul_f64_e32 v[0:1], v[16:17], v[0:1]
	v_fma_f64 v[14:15], v[14:15], v[2:3], -v[0:1]
	ds_load_b128 v[0:3], v150 offset:14400
	s_wait_loadcnt_dscnt 0x1200
	v_mul_f64_e32 v[16:17], v[20:21], v[2:3]
	s_delay_alu instid0(VALU_DEP_1) | instskip(SKIP_1) | instid1(VALU_DEP_1)
	v_fma_f64 v[16:17], v[18:19], v[0:1], v[16:17]
	v_mul_f64_e32 v[0:1], v[20:21], v[0:1]
	v_fma_f64 v[18:19], v[18:19], v[2:3], -v[0:1]
	ds_load_b128 v[0:3], v150 offset:19200
	s_wait_loadcnt_dscnt 0x1100
	v_mul_f64_e32 v[20:21], v[24:25], v[2:3]
	s_delay_alu instid0(VALU_DEP_1) | instskip(SKIP_1) | instid1(VALU_DEP_1)
	v_fma_f64 v[20:21], v[22:23], v[0:1], v[20:21]
	v_mul_f64_e32 v[0:1], v[24:25], v[0:1]
	v_fma_f64 v[22:23], v[22:23], v[2:3], -v[0:1]
	ds_load_b128 v[0:3], v150 offset:24000
	s_wait_loadcnt_dscnt 0x1000
	v_mul_f64_e32 v[24:25], v[28:29], v[2:3]
	s_delay_alu instid0(VALU_DEP_1) | instskip(SKIP_1) | instid1(VALU_DEP_1)
	v_fma_f64 v[24:25], v[26:27], v[0:1], v[24:25]
	v_mul_f64_e32 v[0:1], v[28:29], v[0:1]
	v_fma_f64 v[26:27], v[26:27], v[2:3], -v[0:1]
	ds_load_b128 v[0:3], v150 offset:28800
	s_wait_dscnt 0x0
	v_mul_f64_e32 v[28:29], v[32:33], v[2:3]
	s_delay_alu instid0(VALU_DEP_1) | instskip(SKIP_1) | instid1(VALU_DEP_1)
	v_fma_f64 v[28:29], v[30:31], v[0:1], v[28:29]
	v_mul_f64_e32 v[0:1], v[32:33], v[0:1]
	v_fma_f64 v[30:31], v[30:31], v[2:3], -v[0:1]
	ds_load_b128 v[0:3], v150 offset:33600
	s_wait_loadcnt_dscnt 0xf00
	v_mul_f64_e32 v[32:33], v[36:37], v[2:3]
	s_delay_alu instid0(VALU_DEP_1) | instskip(SKIP_1) | instid1(VALU_DEP_1)
	v_fma_f64 v[32:33], v[34:35], v[0:1], v[32:33]
	v_mul_f64_e32 v[0:1], v[36:37], v[0:1]
	v_fma_f64 v[34:35], v[34:35], v[2:3], -v[0:1]
	ds_load_b128 v[0:3], v150 offset:38400
	s_wait_loadcnt_dscnt 0xd00
	;; [unrolled: 7-line block ×8, first 2 shown]
	v_mul_f64_e32 v[60:61], v[64:65], v[2:3]
	s_delay_alu instid0(VALU_DEP_1) | instskip(SKIP_1) | instid1(VALU_DEP_1)
	v_fma_f64 v[60:61], v[62:63], v[0:1], v[60:61]
	v_mul_f64_e32 v[0:1], v[64:65], v[0:1]
	v_fma_f64 v[62:63], v[62:63], v[2:3], -v[0:1]
	ds_load_b128 v[0:3], v150 offset:25600
	s_wait_dscnt 0x0
	v_mul_f64_e32 v[64:65], v[68:69], v[2:3]
	s_delay_alu instid0(VALU_DEP_1) | instskip(SKIP_1) | instid1(VALU_DEP_1)
	v_fma_f64 v[64:65], v[66:67], v[0:1], v[64:65]
	v_mul_f64_e32 v[0:1], v[68:69], v[0:1]
	v_fma_f64 v[66:67], v[66:67], v[2:3], -v[0:1]
	ds_load_b128 v[0:3], v150 offset:30400
	s_wait_dscnt 0x0
	;; [unrolled: 7-line block ×3, first 2 shown]
	v_mul_f64_e32 v[72:73], v[76:77], v[2:3]
	s_delay_alu instid0(VALU_DEP_1) | instskip(SKIP_1) | instid1(VALU_DEP_1)
	v_fma_f64 v[72:73], v[74:75], v[0:1], v[72:73]
	v_mul_f64_e32 v[0:1], v[76:77], v[0:1]
	v_fma_f64 v[74:75], v[74:75], v[2:3], -v[0:1]
	ds_load_b128 v[0:3], v150 offset:40000
	s_wait_loadcnt_dscnt 0x300
	v_mul_f64_e32 v[76:77], v[80:81], v[2:3]
	s_delay_alu instid0(VALU_DEP_1) | instskip(SKIP_1) | instid1(VALU_DEP_1)
	v_fma_f64 v[76:77], v[78:79], v[0:1], v[76:77]
	v_mul_f64_e32 v[0:1], v[80:81], v[0:1]
	v_fma_f64 v[78:79], v[78:79], v[2:3], -v[0:1]
	ds_load_b128 v[0:3], v150 offset:44800
	s_wait_dscnt 0x0
	v_mul_f64_e32 v[80:81], v[84:85], v[2:3]
	s_delay_alu instid0(VALU_DEP_1) | instskip(SKIP_1) | instid1(VALU_DEP_1)
	v_fma_f64 v[80:81], v[82:83], v[0:1], v[80:81]
	v_mul_f64_e32 v[0:1], v[84:85], v[0:1]
	v_fma_f64 v[82:83], v[82:83], v[2:3], -v[0:1]
	ds_load_b128 v[0:3], v150 offset:3200
	s_wait_loadcnt_dscnt 0x100
	v_mul_f64_e32 v[84:85], v[88:89], v[2:3]
	s_delay_alu instid0(VALU_DEP_1) | instskip(SKIP_1) | instid1(VALU_DEP_1)
	v_fma_f64 v[84:85], v[86:87], v[0:1], v[84:85]
	v_mul_f64_e32 v[0:1], v[88:89], v[0:1]
	v_fma_f64 v[86:87], v[86:87], v[2:3], -v[0:1]
	ds_load_b128 v[0:3], v150 offset:8000
	s_wait_loadcnt_dscnt 0x0
	v_mul_f64_e32 v[88:89], v[92:93], v[2:3]
	s_delay_alu instid0(VALU_DEP_1) | instskip(SKIP_1) | instid1(VALU_DEP_1)
	v_fma_f64 v[88:89], v[90:91], v[0:1], v[88:89]
	v_mul_f64_e32 v[0:1], v[92:93], v[0:1]
	v_fma_f64 v[90:91], v[90:91], v[2:3], -v[0:1]
	ds_load_b128 v[0:3], v150 offset:12800
	s_wait_dscnt 0x0
	v_mul_f64_e32 v[92:93], v[96:97], v[2:3]
	s_delay_alu instid0(VALU_DEP_1)
	v_fma_f64 v[92:93], v[94:95], v[0:1], v[92:93]
	v_mul_f64_e32 v[0:1], v[96:97], v[0:1]
	scratch_load_b32 v96, off, off offset:488 th:TH_LOAD_LU ; 4-byte Folded Reload
	v_fma_f64 v[94:95], v[94:95], v[2:3], -v[0:1]
	scratch_load_b64 v[2:3], off, off th:TH_LOAD_LU ; 8-byte Folded Reload
	s_wait_loadcnt 0x0
	v_mad_co_u64_u32 v[0:1], null, s6, v2, 0
	s_delay_alu instid0(VALU_DEP_1) | instskip(SKIP_1) | instid1(VALU_DEP_2)
	v_mad_co_u64_u32 v[1:2], null, s7, v2, v[1:2]
	v_mad_co_u64_u32 v[2:3], null, s4, v96, 0
	v_lshlrev_b64_e32 v[0:1], 4, v[0:1]
	s_delay_alu instid0(VALU_DEP_2) | instskip(NEXT) | instid1(VALU_DEP_1)
	v_mad_co_u64_u32 v[96:97], null, s5, v96, v[3:4]
	v_mov_b32_e32 v3, v96
	s_delay_alu instid0(VALU_DEP_3) | instskip(SKIP_1) | instid1(VALU_DEP_4)
	v_add_co_u32 v96, vcc_lo, s0, v0
	s_wait_alu 0xfffd
	v_add_co_ci_u32_e32 v97, vcc_lo, s1, v1, vcc_lo
	s_delay_alu instid0(VALU_DEP_3)
	v_lshlrev_b64_e32 v[0:1], 4, v[2:3]
	s_wait_alu 0xfffe
	v_mul_f64_e32 v[2:3], s[2:3], v[6:7]
	s_mul_u64 s[0:1], s[4:5], 0x12c0
	v_mul_f64_e32 v[6:7], s[2:3], v[26:27]
	v_mul_f64_e32 v[26:27], s[2:3], v[50:51]
	s_mul_i32 s5, s5, 0xffff5d80
	v_add_co_u32 v96, vcc_lo, v96, v0
	s_wait_alu 0xfffd
	v_add_co_ci_u32_e32 v97, vcc_lo, v97, v1, vcc_lo
	v_mul_f64_e32 v[0:1], s[2:3], v[4:5]
	s_wait_alu 0xfffe
	v_add_co_u32 v4, vcc_lo, v96, s0
	s_wait_alu 0xfffd
	v_add_co_ci_u32_e32 v5, vcc_lo, s1, v97, vcc_lo
	s_sub_co_i32 s5, s5, s4
	global_store_b128 v[96:97], v[0:3], off
	v_mul_f64_e32 v[0:1], s[2:3], v[8:9]
	v_mul_f64_e32 v[2:3], s[2:3], v[10:11]
	;; [unrolled: 1-line block ×4, first 2 shown]
	global_store_b128 v[4:5], v[0:3], off
	v_mul_f64_e32 v[0:1], s[2:3], v[12:13]
	v_mul_f64_e32 v[2:3], s[2:3], v[14:15]
	v_add_co_u32 v4, vcc_lo, v4, s0
	s_wait_alu 0xfffd
	v_add_co_ci_u32_e32 v5, vcc_lo, s1, v5, vcc_lo
	v_mul_f64_e32 v[12:13], s[2:3], v[32:33]
	s_delay_alu instid0(VALU_DEP_3) | instskip(SKIP_1) | instid1(VALU_DEP_3)
	v_add_co_u32 v8, vcc_lo, v4, s0
	s_wait_alu 0xfffd
	v_add_co_ci_u32_e32 v9, vcc_lo, s1, v5, vcc_lo
	v_mul_f64_e32 v[14:15], s[2:3], v[34:35]
	global_store_b128 v[4:5], v[0:3], off
	v_mul_f64_e32 v[0:1], s[2:3], v[16:17]
	v_mul_f64_e32 v[2:3], s[2:3], v[18:19]
	;; [unrolled: 1-line block ×3, first 2 shown]
	v_add_co_u32 v16, vcc_lo, v8, s0
	s_wait_alu 0xfffd
	v_add_co_ci_u32_e32 v17, vcc_lo, s1, v9, vcc_lo
	v_mul_f64_e32 v[18:19], s[2:3], v[38:39]
	global_store_b128 v[8:9], v[0:3], off
	v_mul_f64_e32 v[0:1], s[2:3], v[20:21]
	v_mul_f64_e32 v[2:3], s[2:3], v[22:23]
	v_add_co_u32 v20, vcc_lo, v16, s0
	s_wait_alu 0xfffd
	v_add_co_ci_u32_e32 v21, vcc_lo, s1, v17, vcc_lo
	v_mul_f64_e32 v[8:9], s[2:3], v[28:29]
	s_delay_alu instid0(VALU_DEP_3) | instskip(SKIP_1) | instid1(VALU_DEP_3)
	v_add_co_u32 v24, vcc_lo, v20, s0
	s_wait_alu 0xfffd
	v_add_co_ci_u32_e32 v25, vcc_lo, s1, v21, vcc_lo
	v_mul_f64_e32 v[22:23], s[2:3], v[46:47]
	s_delay_alu instid0(VALU_DEP_3) | instskip(SKIP_1) | instid1(VALU_DEP_3)
	v_add_co_u32 v28, vcc_lo, v24, s0
	s_wait_alu 0xfffd
	v_add_co_ci_u32_e32 v29, vcc_lo, s1, v25, vcc_lo
	global_store_b128 v[16:17], v[0:3], off
	global_store_b128 v[20:21], v[4:7], off
	scratch_load_b128 v[4:7], off, off offset:104 th:TH_LOAD_LU ; 16-byte Folded Reload
	ds_load_b128 v[0:3], v150 offset:17600
	v_mul_f64_e32 v[20:21], s[2:3], v[44:45]
	v_mul_f64_e32 v[16:17], s[2:3], v[36:37]
	global_store_b128 v[24:25], v[8:11], off
	ds_load_b128 v[8:11], v150 offset:22400
	v_mul_f64_e32 v[24:25], s[2:3], v[48:49]
	v_add_co_u32 v36, vcc_lo, v28, s0
	s_wait_alu 0xfffd
	v_add_co_ci_u32_e32 v37, vcc_lo, s1, v29, vcc_lo
	global_store_b128 v[28:29], v[12:15], off
	v_add_co_u32 v38, vcc_lo, v36, s0
	v_mul_f64_e32 v[28:29], s[2:3], v[52:53]
	s_wait_alu 0xfffd
	v_add_co_ci_u32_e32 v39, vcc_lo, s1, v37, vcc_lo
	scratch_load_b128 v[48:51], off, off offset:72 th:TH_LOAD_LU ; 16-byte Folded Reload
	ds_load_b128 v[12:15], v150 offset:27200
	global_store_b128 v[36:37], v[16:19], off
	v_mad_co_u64_u32 v[16:17], null, 0xffff5d80, s4, v[38:39]
	s_wait_alu 0xfffe
	s_delay_alu instid0(VALU_DEP_1)
	v_add_nc_u32_e32 v17, s5, v17
	s_wait_loadcnt_dscnt 0x102
	v_mul_f64_e32 v[32:33], v[6:7], v[2:3]
	v_mul_f64_e32 v[34:35], v[6:7], v[0:1]
	;; [unrolled: 1-line block ×3, first 2 shown]
	scratch_load_b128 v[42:45], off, off offset:56 th:TH_LOAD_LU ; 16-byte Folded Reload
	v_dual_mov_b32 v99, v5 :: v_dual_mov_b32 v98, v4
	v_mul_f64_e32 v[4:5], s[2:3], v[40:41]
	s_wait_loadcnt_dscnt 0x100
	v_mul_f64_e32 v[46:47], v[50:51], v[12:13]
	global_store_b128 v[38:39], v[4:7], off
	global_store_b128 v[16:17], v[20:23], off
	v_mul_f64_e32 v[22:23], s[2:3], v[58:59]
	ds_load_b128 v[4:7], v150 offset:36800
	v_mul_f64_e32 v[20:21], s[2:3], v[56:57]
	v_mul_f64_e32 v[38:39], s[2:3], v[78:79]
	s_wait_loadcnt 0x0
	v_mul_f64_e32 v[36:37], v[44:45], v[10:11]
	v_mul_f64_e32 v[40:41], v[44:45], v[8:9]
	v_dual_mov_b32 v97, v43 :: v_dual_mov_b32 v96, v42
	v_fma_f64 v[42:43], v[98:99], v[0:1], v[32:33]
	v_add_co_u32 v32, vcc_lo, v16, s0
	s_wait_alu 0xfffd
	v_add_co_ci_u32_e32 v33, vcc_lo, s1, v17, vcc_lo
	ds_load_b128 v[16:19], v150 offset:32000
	v_fma_f64 v[44:45], v[98:99], v[2:3], -v[34:35]
	v_mul_f64_e32 v[34:35], v[50:51], v[14:15]
	global_store_b128 v[32:33], v[24:27], off
	v_add_co_u32 v32, vcc_lo, v32, s0
	s_wait_alu 0xfffd
	v_add_co_ci_u32_e32 v33, vcc_lo, s1, v33, vcc_lo
	ds_load_b128 v[24:27], v150 offset:41600
	ds_load_b128 v[0:3], v150 offset:46400
	v_mov_b32_e32 v99, v49
	global_store_b128 v[32:33], v[28:31], off
	v_mul_f64_e32 v[28:29], s[2:3], v[60:61]
	scratch_load_b128 v[58:61], off, off offset:8 th:TH_LOAD_LU ; 16-byte Folded Reload
	v_mul_f64_e32 v[30:31], s[2:3], v[62:63]
	v_mov_b32_e32 v98, v48
	v_add_co_u32 v48, vcc_lo, v32, s0
	s_wait_alu 0xfffd
	v_add_co_ci_u32_e32 v49, vcc_lo, s1, v33, vcc_lo
	v_mul_f64_e32 v[32:33], s[2:3], v[64:65]
	v_fma_f64 v[46:47], v[98:99], v[14:15], -v[46:47]
	v_add_co_u32 v50, vcc_lo, v48, s0
	s_wait_alu 0xfffd
	v_add_co_ci_u32_e32 v51, vcc_lo, s1, v49, vcc_lo
	v_mul_f64_e32 v[14:15], s[2:3], v[74:75]
	global_store_b128 v[48:49], v[20:23], off
	v_fma_f64 v[54:55], v[96:97], v[8:9], v[36:37]
	v_fma_f64 v[40:41], v[96:97], v[10:11], -v[40:41]
	scratch_load_b128 v[8:11], off, off offset:24 th:TH_LOAD_LU ; 16-byte Folded Reload
	v_mul_f64_e32 v[36:37], s[2:3], v[76:77]
	v_fma_f64 v[64:65], v[98:99], v[12:13], v[34:35]
	v_mul_f64_e32 v[34:35], s[2:3], v[66:67]
	v_mul_f64_e32 v[12:13], s[2:3], v[72:73]
	v_add_co_u32 v66, vcc_lo, v50, s0
	s_wait_alu 0xfffd
	v_add_co_ci_u32_e32 v67, vcc_lo, s1, v51, vcc_lo
	global_store_b128 v[50:51], v[28:31], off
	s_wait_loadcnt 0x1
	v_mov_b32_e32 v103, v59
	s_wait_dscnt 0x2
	v_mul_f64_e32 v[52:53], v[60:61], v[18:19]
	v_mul_f64_e32 v[56:57], v[60:61], v[16:17]
	s_wait_loadcnt 0x0
	v_dual_mov_b32 v102, v58 :: v_dual_mov_b32 v105, v9
	v_mul_f64_e32 v[58:59], v[10:11], v[6:7]
	v_mul_f64_e32 v[60:61], v[10:11], v[4:5]
	v_mov_b32_e32 v104, v8
	scratch_load_b128 v[8:11], off, off offset:40 th:TH_LOAD_LU ; 16-byte Folded Reload
	v_fma_f64 v[52:53], v[102:103], v[16:17], v[52:53]
	v_fma_f64 v[56:57], v[102:103], v[18:19], -v[56:57]
	v_mul_f64_e32 v[16:17], s[2:3], v[42:43]
	v_mul_f64_e32 v[18:19], s[2:3], v[44:45]
	v_fma_f64 v[58:59], v[104:105], v[4:5], v[58:59]
	v_fma_f64 v[60:61], v[104:105], v[6:7], -v[60:61]
	v_mul_f64_e32 v[4:5], s[2:3], v[84:85]
	v_mul_f64_e32 v[6:7], s[2:3], v[86:87]
	;; [unrolled: 1-line block ×4, first 2 shown]
	s_wait_loadcnt 0x0
	v_mov_b32_e32 v107, v9
	s_wait_dscnt 0x1
	v_mul_f64_e32 v[62:63], v[10:11], v[26:27]
	v_mul_f64_e32 v[96:97], v[10:11], v[24:25]
	v_mov_b32_e32 v106, v8
	scratch_load_b128 v[8:11], off, off offset:88 th:TH_LOAD_LU ; 16-byte Folded Reload
	v_fma_f64 v[62:63], v[106:107], v[24:25], v[62:63]
	v_mul_f64_e32 v[24:25], s[2:3], v[64:65]
	s_wait_loadcnt_dscnt 0x0
	v_mul_f64_e32 v[98:99], v[10:11], v[2:3]
	v_mul_f64_e32 v[100:101], v[10:11], v[0:1]
	v_dual_mov_b32 v109, v9 :: v_dual_mov_b32 v108, v8
	v_mul_f64_e32 v[8:9], s[2:3], v[68:69]
	v_mul_f64_e32 v[10:11], s[2:3], v[70:71]
	v_add_co_u32 v68, vcc_lo, v66, s0
	s_wait_alu 0xfffd
	v_add_co_ci_u32_e32 v69, vcc_lo, s1, v67, vcc_lo
	v_fma_f64 v[70:71], v[106:107], v[26:27], -v[96:97]
	s_delay_alu instid0(VALU_DEP_3) | instskip(SKIP_1) | instid1(VALU_DEP_3)
	v_add_co_u32 v20, vcc_lo, v68, s0
	s_wait_alu 0xfffd
	v_add_co_ci_u32_e32 v21, vcc_lo, s1, v69, vcc_lo
	global_store_b128 v[66:67], v[32:35], off
	global_store_b128 v[68:69], v[8:11], off
	;; [unrolled: 1-line block ×3, first 2 shown]
	v_fma_f64 v[72:73], v[108:109], v[0:1], v[98:99]
	v_fma_f64 v[74:75], v[108:109], v[2:3], -v[100:101]
	v_add_co_u32 v22, vcc_lo, v20, s0
	v_mul_f64_e32 v[0:1], s[2:3], v[80:81]
	v_mul_f64_e32 v[2:3], s[2:3], v[82:83]
	s_wait_alu 0xfffd
	v_add_co_ci_u32_e32 v23, vcc_lo, s1, v21, vcc_lo
	v_add_co_u32 v48, vcc_lo, v22, s0
	v_mul_f64_e32 v[8:9], s[2:3], v[88:89]
	s_wait_alu 0xfffd
	s_delay_alu instid0(VALU_DEP_3)
	v_add_co_ci_u32_e32 v49, vcc_lo, s1, v23, vcc_lo
	v_mul_f64_e32 v[10:11], s[2:3], v[90:91]
	global_store_b128 v[22:23], v[36:39], off
	v_mul_f64_e32 v[12:13], s[2:3], v[92:93]
	v_mad_co_u64_u32 v[50:51], null, 0xffff5d80, s4, v[48:49]
	v_mul_f64_e32 v[14:15], s[2:3], v[94:95]
	v_mul_f64_e32 v[20:21], s[2:3], v[54:55]
	;; [unrolled: 1-line block ×6, first 2 shown]
	v_add_nc_u32_e32 v51, s5, v51
	v_add_co_u32 v66, vcc_lo, v50, s0
	v_mul_f64_e32 v[36:37], s[2:3], v[62:63]
	v_mul_f64_e32 v[38:39], s[2:3], v[70:71]
	s_wait_alu 0xfffd
	v_add_co_ci_u32_e32 v67, vcc_lo, s1, v51, vcc_lo
	v_add_co_u32 v44, vcc_lo, v66, s0
	s_wait_alu 0xfffd
	s_delay_alu instid0(VALU_DEP_2) | instskip(NEXT) | instid1(VALU_DEP_2)
	v_add_co_ci_u32_e32 v45, vcc_lo, s1, v67, vcc_lo
	v_add_co_u32 v46, vcc_lo, v44, s0
	v_mul_f64_e32 v[40:41], s[2:3], v[72:73]
	v_mul_f64_e32 v[42:43], s[2:3], v[74:75]
	s_wait_alu 0xfffd
	v_add_co_ci_u32_e32 v47, vcc_lo, s1, v45, vcc_lo
	global_store_b128 v[48:49], v[0:3], off
	v_add_co_u32 v0, vcc_lo, v46, s0
	s_wait_alu 0xfffd
	v_add_co_ci_u32_e32 v1, vcc_lo, s1, v47, vcc_lo
	global_store_b128 v[50:51], v[4:7], off
	v_add_co_u32 v2, vcc_lo, v0, s0
	s_wait_alu 0xfffd
	v_add_co_ci_u32_e32 v3, vcc_lo, s1, v1, vcc_lo
	global_store_b128 v[66:67], v[8:11], off
	v_add_co_u32 v4, vcc_lo, v2, s0
	s_wait_alu 0xfffd
	v_add_co_ci_u32_e32 v5, vcc_lo, s1, v3, vcc_lo
	global_store_b128 v[44:45], v[12:15], off
	v_add_co_u32 v6, vcc_lo, v4, s0
	s_wait_alu 0xfffd
	v_add_co_ci_u32_e32 v7, vcc_lo, s1, v5, vcc_lo
	global_store_b128 v[46:47], v[16:19], off
	v_add_co_u32 v8, vcc_lo, v6, s0
	s_wait_alu 0xfffd
	v_add_co_ci_u32_e32 v9, vcc_lo, s1, v7, vcc_lo
	global_store_b128 v[0:1], v[20:23], off
	v_add_co_u32 v0, vcc_lo, v8, s0
	s_wait_alu 0xfffd
	v_add_co_ci_u32_e32 v1, vcc_lo, s1, v9, vcc_lo
	global_store_b128 v[2:3], v[24:27], off
	global_store_b128 v[4:5], v[28:31], off
	;; [unrolled: 1-line block ×5, first 2 shown]
.LBB0_2:
	s_nop 0
	s_sendmsg sendmsg(MSG_DEALLOC_VGPRS)
	s_endpgm
	.section	.rodata,"a",@progbits
	.p2align	6, 0x0
	.amdhsa_kernel bluestein_single_fwd_len3000_dim1_dp_op_CI_CI
		.amdhsa_group_segment_fixed_size 48000
		.amdhsa_private_segment_fixed_size 1508
		.amdhsa_kernarg_size 104
		.amdhsa_user_sgpr_count 2
		.amdhsa_user_sgpr_dispatch_ptr 0
		.amdhsa_user_sgpr_queue_ptr 0
		.amdhsa_user_sgpr_kernarg_segment_ptr 1
		.amdhsa_user_sgpr_dispatch_id 0
		.amdhsa_user_sgpr_private_segment_size 0
		.amdhsa_wavefront_size32 1
		.amdhsa_uses_dynamic_stack 0
		.amdhsa_enable_private_segment 1
		.amdhsa_system_sgpr_workgroup_id_x 1
		.amdhsa_system_sgpr_workgroup_id_y 0
		.amdhsa_system_sgpr_workgroup_id_z 0
		.amdhsa_system_sgpr_workgroup_info 0
		.amdhsa_system_vgpr_workitem_id 0
		.amdhsa_next_free_vgpr 256
		.amdhsa_next_free_sgpr 31
		.amdhsa_reserve_vcc 1
		.amdhsa_float_round_mode_32 0
		.amdhsa_float_round_mode_16_64 0
		.amdhsa_float_denorm_mode_32 3
		.amdhsa_float_denorm_mode_16_64 3
		.amdhsa_fp16_overflow 0
		.amdhsa_workgroup_processor_mode 1
		.amdhsa_memory_ordered 1
		.amdhsa_forward_progress 0
		.amdhsa_round_robin_scheduling 0
		.amdhsa_exception_fp_ieee_invalid_op 0
		.amdhsa_exception_fp_denorm_src 0
		.amdhsa_exception_fp_ieee_div_zero 0
		.amdhsa_exception_fp_ieee_overflow 0
		.amdhsa_exception_fp_ieee_underflow 0
		.amdhsa_exception_fp_ieee_inexact 0
		.amdhsa_exception_int_div_zero 0
	.end_amdhsa_kernel
	.text
.Lfunc_end0:
	.size	bluestein_single_fwd_len3000_dim1_dp_op_CI_CI, .Lfunc_end0-bluestein_single_fwd_len3000_dim1_dp_op_CI_CI
                                        ; -- End function
	.section	.AMDGPU.csdata,"",@progbits
; Kernel info:
; codeLenInByte = 42732
; NumSgprs: 33
; NumVgprs: 256
; ScratchSize: 1508
; MemoryBound: 0
; FloatMode: 240
; IeeeMode: 1
; LDSByteSize: 48000 bytes/workgroup (compile time only)
; SGPRBlocks: 4
; VGPRBlocks: 31
; NumSGPRsForWavesPerEU: 33
; NumVGPRsForWavesPerEU: 256
; Occupancy: 2
; WaveLimiterHint : 1
; COMPUTE_PGM_RSRC2:SCRATCH_EN: 1
; COMPUTE_PGM_RSRC2:USER_SGPR: 2
; COMPUTE_PGM_RSRC2:TRAP_HANDLER: 0
; COMPUTE_PGM_RSRC2:TGID_X_EN: 1
; COMPUTE_PGM_RSRC2:TGID_Y_EN: 0
; COMPUTE_PGM_RSRC2:TGID_Z_EN: 0
; COMPUTE_PGM_RSRC2:TIDIG_COMP_CNT: 0
	.text
	.p2alignl 7, 3214868480
	.fill 96, 4, 3214868480
	.type	__hip_cuid_2b042b0cf3c5767a,@object ; @__hip_cuid_2b042b0cf3c5767a
	.section	.bss,"aw",@nobits
	.globl	__hip_cuid_2b042b0cf3c5767a
__hip_cuid_2b042b0cf3c5767a:
	.byte	0                               ; 0x0
	.size	__hip_cuid_2b042b0cf3c5767a, 1

	.ident	"AMD clang version 19.0.0git (https://github.com/RadeonOpenCompute/llvm-project roc-6.4.0 25133 c7fe45cf4b819c5991fe208aaa96edf142730f1d)"
	.section	".note.GNU-stack","",@progbits
	.addrsig
	.addrsig_sym __hip_cuid_2b042b0cf3c5767a
	.amdgpu_metadata
---
amdhsa.kernels:
  - .args:
      - .actual_access:  read_only
        .address_space:  global
        .offset:         0
        .size:           8
        .value_kind:     global_buffer
      - .actual_access:  read_only
        .address_space:  global
        .offset:         8
        .size:           8
        .value_kind:     global_buffer
      - .actual_access:  read_only
        .address_space:  global
        .offset:         16
        .size:           8
        .value_kind:     global_buffer
      - .actual_access:  read_only
        .address_space:  global
        .offset:         24
        .size:           8
        .value_kind:     global_buffer
      - .actual_access:  read_only
        .address_space:  global
        .offset:         32
        .size:           8
        .value_kind:     global_buffer
      - .offset:         40
        .size:           8
        .value_kind:     by_value
      - .address_space:  global
        .offset:         48
        .size:           8
        .value_kind:     global_buffer
      - .address_space:  global
        .offset:         56
        .size:           8
        .value_kind:     global_buffer
      - .address_space:  global
        .offset:         64
        .size:           8
        .value_kind:     global_buffer
      - .address_space:  global
        .offset:         72
        .size:           8
        .value_kind:     global_buffer
      - .offset:         80
        .size:           4
        .value_kind:     by_value
      - .address_space:  global
        .offset:         88
        .size:           8
        .value_kind:     global_buffer
      - .address_space:  global
        .offset:         96
        .size:           8
        .value_kind:     global_buffer
    .group_segment_fixed_size: 48000
    .kernarg_segment_align: 8
    .kernarg_segment_size: 104
    .language:       OpenCL C
    .language_version:
      - 2
      - 0
    .max_flat_workgroup_size: 100
    .name:           bluestein_single_fwd_len3000_dim1_dp_op_CI_CI
    .private_segment_fixed_size: 1508
    .sgpr_count:     33
    .sgpr_spill_count: 0
    .symbol:         bluestein_single_fwd_len3000_dim1_dp_op_CI_CI.kd
    .uniform_work_group_size: 1
    .uses_dynamic_stack: false
    .vgpr_count:     256
    .vgpr_spill_count: 376
    .wavefront_size: 32
    .workgroup_processor_mode: 1
amdhsa.target:   amdgcn-amd-amdhsa--gfx1201
amdhsa.version:
  - 1
  - 2
...

	.end_amdgpu_metadata
